;; amdgpu-corpus repo=zjin-lcf/HeCBench kind=compiled arch=gfx906 opt=O3
	.amdgcn_target "amdgcn-amd-amdhsa--gfx906"
	.amdhsa_code_object_version 6
	.text
	.protected	_Z16shuffling_kernelPhPKhjj ; -- Begin function _Z16shuffling_kernelPhPKhjj
	.globl	_Z16shuffling_kernelPhPKhjj
	.p2align	8
	.type	_Z16shuffling_kernelPhPKhjj,@function
_Z16shuffling_kernelPhPKhjj:            ; @_Z16shuffling_kernelPhPKhjj
; %bb.0:
	s_load_dword s7, s[4:5], 0x24
	s_load_dwordx4 s[0:3], s[4:5], 0x0
	s_load_dwordx2 s[8:9], s[4:5], 0x10
	v_mov_b32_e32 v2, 0
	v_mov_b32_e32 v7, 0
	s_waitcnt lgkmcnt(0)
	s_and_b32 s4, s7, 0xffff
	s_mul_i32 s6, s6, s4
	v_add_u32_e32 v6, s6, v0
	v_sub_co_u32_e64 v0, s[6:7], s8, 1
	v_readfirstlane_b32 s4, v0
	v_mov_b32_e32 v1, s1
	v_add_co_u32_e32 v0, vcc, s0, v6
	v_addc_co_u32_e32 v1, vcc, 0, v1, vcc
	s_and_b64 vcc, exec, s[6:7]
	v_mov_b32_e32 v3, 0
	s_cbranch_vccnz .LBB0_3
; %bb.1:
	v_mov_b32_e32 v2, 0
	v_mov_b32_e32 v5, v1
	s_mov_b32 s7, 0
	s_mov_b32 s6, s8
	;; [unrolled: 1-line block ×3, first 2 shown]
	v_mov_b32_e32 v3, 0
	v_mov_b32_e32 v4, v0
.LBB0_2:                                ; =>This Inner Loop Header: Depth=1
	global_load_ubyte v8, v7, s[2:3]
	s_add_u32 s6, s6, -1
	s_addc_u32 s7, s7, -1
	s_add_u32 s2, s2, 1
	s_addc_u32 s3, s3, 0
	s_cmp_lg_u64 s[6:7], 0
	s_waitcnt vmcnt(0)
	v_add_co_u32_sdwa v2, vcc, v2, v8 dst_sel:DWORD dst_unused:UNUSED_PAD src0_sel:DWORD src1_sel:BYTE_0
	v_addc_co_u32_e32 v3, vcc, 0, v3, vcc
	global_store_byte v[4:5], v8, off
	v_add_co_u32_e32 v4, vcc, s5, v4
	v_addc_co_u32_e32 v5, vcc, 0, v5, vcc
	s_cbranch_scc1 .LBB0_2
.LBB0_3:
	s_cmp_eq_u32 s4, 0
	s_mov_b32 s5, 0
	s_cbranch_scc1 .LBB0_8
; %bb.4:
	s_mul_i32 s6, s9, s4
	s_mul_hi_u32 s3, s9, s4
	s_add_u32 s0, s0, s6
	s_addc_u32 s1, s1, s3
	s_sub_u32 s3, 0, s9
	v_mov_b32_e32 v5, s1
	v_add_co_u32_e32 v4, vcc, s0, v6
	s_subb_u32 s0, 0, 0
	v_xor_b32_e32 v2, v2, v6
	s_mov_b32 s2, s9
	v_addc_co_u32_e32 v5, vcc, 0, v5, vcc
	s_mov_b32 s6, 0xe48e2825
	s_mov_b32 s7, 0x26f19d38
	v_mov_b32_e32 v7, 0
	v_mov_b32_e32 v10, s0
	s_branch .LBB0_6
.LBB0_5:                                ;   in Loop: Header=BB0_6 Depth=1
	s_or_b64 exec, exec, s[0:1]
	v_mad_u64_u32 v[11:12], s[0:1], v6, s2, v[0:1]
	v_mul_lo_u32 v2, v2, s7
	global_load_ubyte v6, v[4:5], off
	global_load_ubyte v13, v[11:12], off
	v_mul_lo_u32 v3, v3, s6
	s_add_u32 s4, s4, -1
	s_addc_u32 s5, s5, -1
	s_cmp_lg_u64 s[4:5], 0
	v_add3_u32 v9, v3, v9, v2
	v_mov_b32_e32 v2, v8
	v_mov_b32_e32 v3, v9
	s_waitcnt vmcnt(1)
	global_store_byte v[11:12], v6, off
	s_waitcnt vmcnt(1)
	global_store_byte v[4:5], v13, off
	v_add_co_u32_e32 v4, vcc, s3, v4
	v_addc_co_u32_e32 v5, vcc, v5, v10, vcc
	s_cbranch_scc0 .LBB0_8
.LBB0_6:                                ; =>This Inner Loop Header: Depth=1
	v_mad_u64_u32 v[8:9], s[0:1], v2, s6, 1
	v_mov_b32_e32 v6, v8
	v_cmp_le_u64_e32 vcc, s[4:5], v[6:7]
	s_and_saveexec_b64 s[0:1], vcc
	s_cbranch_execz .LBB0_5
; %bb.7:                                ;   in Loop: Header=BB0_6 Depth=1
	v_cvt_f32_u32_e32 v11, s4
	s_sub_i32 s8, 0, s4
	v_rcp_iflag_f32_e32 v11, v11
	v_mul_f32_e32 v11, 0x4f7ffffe, v11
	v_cvt_u32_f32_e32 v11, v11
	v_mul_lo_u32 v12, s8, v11
	v_mul_hi_u32 v12, v11, v12
	v_add_u32_e32 v11, v11, v12
	v_mul_hi_u32 v11, v6, v11
	v_mul_lo_u32 v11, v11, s4
	v_sub_u32_e32 v6, v6, v11
	v_subrev_u32_e32 v11, s4, v6
	v_cmp_le_u32_e32 vcc, s4, v6
	v_cndmask_b32_e32 v6, v6, v11, vcc
	v_subrev_u32_e32 v11, s4, v6
	v_cmp_le_u32_e32 vcc, s4, v6
	v_cndmask_b32_e32 v6, v6, v11, vcc
	s_branch .LBB0_5
.LBB0_8:
	s_endpgm
	.section	.rodata,"a",@progbits
	.p2align	6, 0x0
	.amdhsa_kernel _Z16shuffling_kernelPhPKhjj
		.amdhsa_group_segment_fixed_size 0
		.amdhsa_private_segment_fixed_size 0
		.amdhsa_kernarg_size 280
		.amdhsa_user_sgpr_count 6
		.amdhsa_user_sgpr_private_segment_buffer 1
		.amdhsa_user_sgpr_dispatch_ptr 0
		.amdhsa_user_sgpr_queue_ptr 0
		.amdhsa_user_sgpr_kernarg_segment_ptr 1
		.amdhsa_user_sgpr_dispatch_id 0
		.amdhsa_user_sgpr_flat_scratch_init 0
		.amdhsa_user_sgpr_private_segment_size 0
		.amdhsa_uses_dynamic_stack 0
		.amdhsa_system_sgpr_private_segment_wavefront_offset 0
		.amdhsa_system_sgpr_workgroup_id_x 1
		.amdhsa_system_sgpr_workgroup_id_y 0
		.amdhsa_system_sgpr_workgroup_id_z 0
		.amdhsa_system_sgpr_workgroup_info 0
		.amdhsa_system_vgpr_workitem_id 0
		.amdhsa_next_free_vgpr 14
		.amdhsa_next_free_sgpr 10
		.amdhsa_reserve_vcc 1
		.amdhsa_reserve_flat_scratch 0
		.amdhsa_float_round_mode_32 0
		.amdhsa_float_round_mode_16_64 0
		.amdhsa_float_denorm_mode_32 3
		.amdhsa_float_denorm_mode_16_64 3
		.amdhsa_dx10_clamp 1
		.amdhsa_ieee_mode 1
		.amdhsa_fp16_overflow 0
		.amdhsa_exception_fp_ieee_invalid_op 0
		.amdhsa_exception_fp_denorm_src 0
		.amdhsa_exception_fp_ieee_div_zero 0
		.amdhsa_exception_fp_ieee_overflow 0
		.amdhsa_exception_fp_ieee_underflow 0
		.amdhsa_exception_fp_ieee_inexact 0
		.amdhsa_exception_int_div_zero 0
	.end_amdhsa_kernel
	.text
.Lfunc_end0:
	.size	_Z16shuffling_kernelPhPKhjj, .Lfunc_end0-_Z16shuffling_kernelPhPKhjj
                                        ; -- End function
	.set _Z16shuffling_kernelPhPKhjj.num_vgpr, 14
	.set _Z16shuffling_kernelPhPKhjj.num_agpr, 0
	.set _Z16shuffling_kernelPhPKhjj.numbered_sgpr, 10
	.set _Z16shuffling_kernelPhPKhjj.num_named_barrier, 0
	.set _Z16shuffling_kernelPhPKhjj.private_seg_size, 0
	.set _Z16shuffling_kernelPhPKhjj.uses_vcc, 1
	.set _Z16shuffling_kernelPhPKhjj.uses_flat_scratch, 0
	.set _Z16shuffling_kernelPhPKhjj.has_dyn_sized_stack, 0
	.set _Z16shuffling_kernelPhPKhjj.has_recursion, 0
	.set _Z16shuffling_kernelPhPKhjj.has_indirect_call, 0
	.section	.AMDGPU.csdata,"",@progbits
; Kernel info:
; codeLenInByte = 492
; TotalNumSgprs: 14
; NumVgprs: 14
; ScratchSize: 0
; MemoryBound: 0
; FloatMode: 240
; IeeeMode: 1
; LDSByteSize: 0 bytes/workgroup (compile time only)
; SGPRBlocks: 1
; VGPRBlocks: 3
; NumSGPRsForWavesPerEU: 14
; NumVGPRsForWavesPerEU: 14
; Occupancy: 10
; WaveLimiterHint : 0
; COMPUTE_PGM_RSRC2:SCRATCH_EN: 0
; COMPUTE_PGM_RSRC2:USER_SGPR: 6
; COMPUTE_PGM_RSRC2:TRAP_HANDLER: 0
; COMPUTE_PGM_RSRC2:TGID_X_EN: 1
; COMPUTE_PGM_RSRC2:TGID_Y_EN: 0
; COMPUTE_PGM_RSRC2:TGID_Z_EN: 0
; COMPUTE_PGM_RSRC2:TIDIG_COMP_CNT: 0
	.text
	.protected	_Z24statistical_tests_kernelPjPKdddPKhjjjj ; -- Begin function _Z24statistical_tests_kernelPjPKdddPKhjjjj
	.globl	_Z24statistical_tests_kernelPjPKdddPKhjjjj
	.p2align	8
	.type	_Z24statistical_tests_kernelPjPKdddPKhjjjj,@function
_Z24statistical_tests_kernelPjPKdddPKhjjjj: ; @_Z24statistical_tests_kernelPjPKdddPKhjjjj
; %bb.0:
	s_load_dwordx4 s[16:19], s[4:5], 0x28
	s_load_dwordx2 s[20:21], s[4:5], 0x20
	s_add_u32 s0, s0, s7
	s_addc_u32 s1, s1, 0
	s_load_dwordx8 s[8:15], s[4:5], 0x0
	s_load_dword s7, s[4:5], 0x44
	s_waitcnt lgkmcnt(0)
	v_cvt_f32_u32_e32 v1, s19
	s_sub_i32 s4, 0, s19
	v_rcp_iflag_f32_e32 v1, v1
	v_mul_f32_e32 v1, 0x4f7ffffe, v1
	v_cvt_u32_f32_e32 v1, v1
	v_readfirstlane_b32 s5, v1
	s_mul_i32 s4, s4, s5
	s_mul_hi_u32 s4, s5, s4
	s_add_i32 s5, s5, s4
	s_mul_hi_u32 s4, s6, s5
	s_mul_i32 s5, s4, s19
	s_sub_i32 s5, s6, s5
	s_add_i32 s22, s4, 1
	s_sub_i32 s23, s5, s19
	s_cmp_ge_u32 s5, s19
	s_cselect_b32 s4, s22, s4
	s_cselect_b32 s5, s23, s5
	s_add_i32 s22, s4, 1
	s_cmp_ge_u32 s5, s19
	s_cselect_b32 s4, s22, s4
	s_and_b32 s5, s7, 0xffff
	s_mul_i32 s7, s4, s19
	s_sub_i32 s7, s6, s7
	s_mul_i32 s7, s7, s5
	s_cmp_le_u32 s19, s6
	v_add_u32_e32 v14, s7, v0
	s_cbranch_scc0 .LBB1_6
; %bb.1:
	s_mov_b64 s[6:7], 0
	s_cmp_eq_u32 s4, 1
	s_mov_b64 s[4:5], 0
                                        ; implicit-def: $vgpr0_vgpr1
	s_cbranch_scc0 .LBB1_7
; %bb.2:
	s_cmp_eq_u32 s17, 0
	s_mov_b32 s23, 0
	s_cbranch_scc1 .LBB1_10
; %bb.3:
	v_mov_b32_e32 v1, s21
	v_add_co_u32_e32 v0, vcc, s20, v14
	v_mov_b32_e32 v2, 0
	v_mov_b32_e32 v4, 0
	s_mov_b32 s22, s17
	v_addc_co_u32_e32 v1, vcc, 0, v1, vcc
	v_mov_b32_e32 v3, 0
	v_mov_b32_e32 v5, 0
	s_mov_b64 s[24:25], 0
.LBB1_4:                                ; =>This Inner Loop Header: Depth=1
	global_load_ubyte v10, v[0:1], off
	s_add_u32 s24, s24, 1
	s_addc_u32 s25, s25, 0
	v_cvt_f64_u32_e32 v[6:7], s25
	v_cvt_f64_u32_e32 v[8:9], s24
	v_add_co_u32_e64 v0, s[4:5], s18, v0
	v_ldexp_f64 v[6:7], v[6:7], 32
	v_addc_co_u32_e64 v1, s[4:5], 0, v1, s[4:5]
	s_cmp_lg_u64 s[22:23], s[24:25]
	v_add_f64 v[6:7], v[6:7], v[8:9]
	s_waitcnt vmcnt(0)
	v_cvt_f64_u32_e32 v[10:11], v10
	v_add_f64 v[2:3], v[2:3], v[10:11]
	v_fma_f64 v[6:7], -s[12:13], v[6:7], v[2:3]
	v_cmp_lt_f64_e64 vcc, v[4:5], |v[6:7]|
	v_and_b32_e32 v8, 0x7fffffff, v7
	v_cndmask_b32_e32 v5, v5, v8, vcc
	v_cndmask_b32_e32 v4, v4, v6, vcc
	s_cbranch_scc1 .LBB1_4
; %bb.5:
	v_cvt_f32_f64_e32 v2, v[4:5]
	s_branch .LBB1_11
.LBB1_6:
	s_mov_b64 s[6:7], -1
	s_mov_b64 s[4:5], 0
                                        ; implicit-def: $vgpr0_vgpr1
.LBB1_7:
	s_and_b64 vcc, exec, s[6:7]
	s_cbranch_vccnz .LBB1_55
.LBB1_8:
	s_and_b64 vcc, exec, s[4:5]
	s_cbranch_vccnz .LBB1_78
.LBB1_9:
	s_endpgm
.LBB1_10:
	v_mov_b32_e32 v2, 0
.LBB1_11:
	s_load_dwordx2 s[4:5], s[10:11], 0x0
	v_mov_b32_e32 v0, s8
	v_mov_b32_e32 v1, s9
	s_waitcnt lgkmcnt(0)
	v_cvt_f32_f64_e32 v3, s[4:5]
	v_cmp_ngt_f32_e32 vcc, v2, v3
	s_and_saveexec_b64 s[4:5], vcc
	s_cbranch_execz .LBB1_15
; %bb.12:
	s_add_u32 s12, s8, 4
	s_addc_u32 s13, s9, 0
	v_mov_b32_e32 v0, s12
	v_cmp_neq_f32_e32 vcc, v2, v3
	v_mov_b32_e32 v1, s13
	s_and_saveexec_b64 s[12:13], vcc
	s_xor_b64 s[12:13], exec, s[12:13]
; %bb.13:
	s_add_u32 s22, s8, 8
	s_addc_u32 s23, s9, 0
	v_mov_b32_e32 v0, s22
	v_mov_b32_e32 v1, s23
; %bb.14:
	s_andn2_saveexec_b64 s[12:13], s[12:13]
	s_or_b64 exec, exec, s[12:13]
.LBB1_15:
	s_or_b64 exec, exec, s[4:5]
	v_mov_b32_e32 v16, 1
	global_atomic_add v[0:1], v16, off
	global_load_ubyte v2, v14, s[20:21]
	v_add_u32_e32 v0, s18, v14
	global_load_ubyte v3, v0, s[20:21]
	v_mov_b32_e32 v4, s21
	s_add_i32 s4, s17, -1
	s_mov_b32 s5, 0
	v_mov_b32_e32 v15, 0
	s_cmp_lt_u32 s4, 2
	s_waitcnt vmcnt(1)
	v_and_b32_e32 v0, 0xffff, v2
	v_cvt_f64_u32_e32 v[0:1], v0
	s_waitcnt vmcnt(0)
	v_cmp_le_u16_e64 s[12:13], v2, v3
	v_cmp_le_f64_e64 s[26:27], s[14:15], v[0:1]
	v_add_co_u32_e32 v0, vcc, s20, v14
	v_addc_co_u32_e32 v1, vcc, 0, v4, vcc
	s_cbranch_scc1 .LBB1_31
; %bb.16:
	s_mov_b32 s19, s5
	s_add_u32 s22, s4, -1
	s_addc_u32 s23, 0, -1
	s_lshl_b64 s[24:25], s[18:19], 1
	v_mov_b32_e32 v6, 0
	v_mov_b32_e32 v8, 0
	;; [unrolled: 1-line block ×13, first 2 shown]
.LBB1_17:                               ; =>This Inner Loop Header: Depth=1
	v_mov_b32_e32 v13, v11
	v_mov_b32_e32 v12, v10
	v_add_co_u32_e32 v10, vcc, s18, v12
	v_addc_co_u32_e32 v11, vcc, 0, v13, vcc
	v_add_co_u32_e32 v12, vcc, s24, v12
	v_addc_co_u32_e32 v13, vcc, v13, v17, vcc
	global_load_ubyte v19, v[10:11], off
	global_load_ubyte v20, v[12:13], off
	s_waitcnt vmcnt(0)
	v_cmp_le_u16_e64 s[28:29], v19, v20
	s_xor_b64 s[30:31], s[12:13], s[28:29]
	s_xor_b64 s[30:31], s[30:31], -1
	s_and_saveexec_b64 s[34:35], s[30:31]
	s_xor_b64 s[30:31], exec, s[34:35]
; %bb.18:                               ;   in Loop: Header=BB1_17 Depth=1
	v_add_u32_e32 v18, 1, v18
; %bb.19:                               ;   in Loop: Header=BB1_17 Depth=1
	s_andn2_saveexec_b64 s[30:31], s[30:31]
	s_cbranch_execz .LBB1_23
; %bb.20:                               ;   in Loop: Header=BB1_17 Depth=1
	v_cvt_f64_u32_e32 v[12:13], v18
	v_cmp_lt_f64_e32 vcc, v[6:7], v[12:13]
	s_and_saveexec_b64 s[34:35], vcc
; %bb.21:                               ;   in Loop: Header=BB1_17 Depth=1
	v_mov_b32_e32 v6, v12
	v_mov_b32_e32 v7, v13
; %bb.22:                               ;   in Loop: Header=BB1_17 Depth=1
	s_or_b64 exec, exec, s[34:35]
	v_add_f64 v[8:9], v[8:9], 1.0
	v_mov_b32_e32 v18, 1
.LBB1_23:                               ;   in Loop: Header=BB1_17 Depth=1
	s_or_b64 exec, exec, s[30:31]
	v_and_b32_e32 v12, 0xffff, v19
	v_cvt_f64_u32_e32 v[12:13], v12
	v_cmp_le_f64_e64 s[30:31], s[14:15], v[12:13]
	s_xor_b64 s[26:27], s[26:27], s[30:31]
	s_xor_b64 s[26:27], s[26:27], -1
	s_and_saveexec_b64 s[34:35], s[26:27]
	s_xor_b64 s[26:27], exec, s[34:35]
; %bb.24:                               ;   in Loop: Header=BB1_17 Depth=1
	v_add_u32_e32 v16, 1, v16
; %bb.25:                               ;   in Loop: Header=BB1_17 Depth=1
	s_andn2_saveexec_b64 s[26:27], s[26:27]
	s_cbranch_execz .LBB1_29
; %bb.26:                               ;   in Loop: Header=BB1_17 Depth=1
	v_cvt_f64_u32_e32 v[12:13], v16
	v_cmp_lt_f64_e32 vcc, v[2:3], v[12:13]
	s_and_saveexec_b64 s[34:35], vcc
; %bb.27:                               ;   in Loop: Header=BB1_17 Depth=1
	v_mov_b32_e32 v2, v12
	v_mov_b32_e32 v3, v13
; %bb.28:                               ;   in Loop: Header=BB1_17 Depth=1
	s_or_b64 exec, exec, s[34:35]
	v_add_f64 v[4:5], v[4:5], 1.0
	v_mov_b32_e32 v16, 1
.LBB1_29:                               ;   in Loop: Header=BB1_17 Depth=1
	s_or_b64 exec, exec, s[26:27]
	s_add_u32 s22, s22, -1
	v_cndmask_b32_e64 v12, 0, 1, s[12:13]
	s_addc_u32 s23, s23, -1
	s_cmp_lg_u64 s[22:23], 0
	v_add_u32_e32 v15, v15, v12
	s_cbranch_scc0 .LBB1_32
; %bb.30:                               ;   in Loop: Header=BB1_17 Depth=1
	s_mov_b64 s[12:13], s[28:29]
	s_mov_b64 s[26:27], s[30:31]
	s_branch .LBB1_17
.LBB1_31:
	v_mov_b32_e32 v2, 0
	v_mov_b32_e32 v10, 0
	;; [unrolled: 1-line block ×10, first 2 shown]
	s_branch .LBB1_33
.LBB1_32:
	v_cvt_f64_u32_e32 v[10:11], v16
	s_mov_b64 s[12:13], s[28:29]
	s_mov_b64 s[26:27], s[30:31]
.LBB1_33:
	s_mul_i32 s19, s4, s18
	v_add_u32_e32 v12, s19, v14
	global_load_ubyte v12, v12, s[20:21]
	s_waitcnt vmcnt(0)
	v_cvt_f64_u32_e32 v[12:13], v12
	v_cmp_nle_f64_e32 vcc, s[14:15], v[12:13]
	s_xor_b64 s[14:15], s[26:27], vcc
	s_xor_b64 s[22:23], s[14:15], -1
	s_and_saveexec_b64 s[14:15], s[22:23]
	s_cbranch_execz .LBB1_37
; %bb.34:
	v_cmp_lt_f64_e32 vcc, v[2:3], v[10:11]
	s_and_saveexec_b64 s[22:23], vcc
; %bb.35:
	v_mov_b32_e32 v2, v10
	v_mov_b32_e32 v3, v11
; %bb.36:
	s_or_b64 exec, exec, s[22:23]
	v_add_f64 v[4:5], v[4:5], 1.0
.LBB1_37:
	s_or_b64 exec, exec, s[14:15]
	v_mov_b32_e32 v12, 0
	global_load_dwordx2 v[10:11], v12, s[10:11] offset:8
	v_mov_b32_e32 v13, s9
	v_mov_b32_e32 v16, 1
	s_cmp_eq_u32 s17, 1
	s_waitcnt vmcnt(0)
	v_cmp_eq_f64_e32 vcc, v[8:9], v[10:11]
	v_cndmask_b32_e64 v17, 20, 16, vcc
	v_cmp_ngt_f64_e32 vcc, v[8:9], v[10:11]
	v_mov_b32_e32 v10, s9
	v_cndmask_b32_e32 v8, 12, v17, vcc
	v_add_co_u32_e32 v8, vcc, s8, v8
	v_addc_co_u32_e32 v9, vcc, 0, v13, vcc
	global_atomic_add v[8:9], v16, off
	global_load_dwordx2 v[8:9], v12, s[10:11] offset:16
	s_waitcnt vmcnt(0)
	v_cmp_eq_f64_e32 vcc, v[6:7], v[8:9]
	v_cndmask_b32_e64 v11, 32, 28, vcc
	v_cmp_ngt_f64_e32 vcc, v[6:7], v[8:9]
	v_cndmask_b32_e64 v8, 0, 1, s[12:13]
	v_add_u32_e32 v8, v15, v8
	v_sub_u32_e32 v9, s17, v8
	v_max_u32_e32 v8, v8, v9
	v_cvt_f64_u32_e32 v[8:9], v8
	v_cndmask_b32_e32 v6, 24, v11, vcc
	v_add_co_u32_e32 v6, vcc, s8, v6
	v_addc_co_u32_e32 v7, vcc, 0, v10, vcc
	global_atomic_add v[6:7], v16, off
	global_load_dwordx2 v[6:7], v12, s[10:11] offset:24
	s_waitcnt vmcnt(0)
	v_cmp_eq_f64_e32 vcc, v[6:7], v[8:9]
	v_cndmask_b32_e64 v11, 44, 40, vcc
	v_cmp_nlt_f64_e32 vcc, v[6:7], v[8:9]
	v_mov_b32_e32 v8, s9
	v_cndmask_b32_e32 v6, 36, v11, vcc
	v_add_co_u32_e32 v6, vcc, s8, v6
	v_addc_co_u32_e32 v7, vcc, 0, v10, vcc
	global_atomic_add v[6:7], v16, off
	global_load_dwordx2 v[6:7], v12, s[10:11] offset:32
	s_waitcnt vmcnt(0)
	v_cmp_eq_f64_e32 vcc, v[4:5], v[6:7]
	v_cndmask_b32_e64 v9, 56, 52, vcc
	v_cmp_ngt_f64_e32 vcc, v[4:5], v[6:7]
	v_mov_b32_e32 v6, 0x44
	v_mov_b32_e32 v7, s9
	v_cndmask_b32_e32 v4, 48, v9, vcc
	v_add_co_u32_e32 v4, vcc, s8, v4
	v_addc_co_u32_e32 v5, vcc, 0, v8, vcc
	global_atomic_add v[4:5], v16, off
	global_load_dwordx2 v[4:5], v12, s[10:11] offset:40
	s_waitcnt vmcnt(0)
	v_cmp_eq_f64_e32 vcc, v[2:3], v[4:5]
	v_cndmask_b32_e64 v6, v6, 64, vcc
	v_cmp_ngt_f64_e32 vcc, v[2:3], v[4:5]
	v_mov_b32_e32 v4, 0
	v_mov_b32_e32 v5, 0
	v_cndmask_b32_e32 v2, 60, v6, vcc
	v_add_co_u32_e32 v2, vcc, s8, v2
	v_addc_co_u32_e32 v3, vcc, 0, v7, vcc
	global_atomic_add v[2:3], v16, off
	v_mov_b32_e32 v2, 0
	v_mov_b32_e32 v3, 0
	s_cbranch_scc1 .LBB1_40
; %bb.38:
	global_load_ubyte v8, v[0:1], off
	v_mov_b32_e32 v2, 0
	v_mov_b32_e32 v4, 0
	;; [unrolled: 1-line block ×6, first 2 shown]
.LBB1_39:                               ; =>This Inner Loop Header: Depth=1
	v_add_co_u32_e32 v6, vcc, s18, v6
	v_addc_co_u32_e32 v7, vcc, 0, v7, vcc
	global_load_ubyte v13, v[6:7], off
	v_add_f64 v[11:12], v[4:5], 1.0
	s_add_u32 s4, s4, -1
	s_addc_u32 s5, s5, -1
	s_cmp_lg_u64 s[4:5], 0
	s_waitcnt vmcnt(0)
	v_mul_u32_u24_sdwa v9, v13, v8 dst_sel:DWORD dst_unused:UNUSED_PAD src0_sel:WORD_0 src1_sel:BYTE_0
	v_cvt_f64_u32_e32 v[9:10], v9
	v_cmp_eq_u16_sdwa vcc, v8, v13 src0_sel:BYTE_0 src1_sel:DWORD
	v_cndmask_b32_e32 v5, v5, v12, vcc
	v_mov_b32_e32 v8, v13
	v_add_f64 v[2:3], v[2:3], v[9:10]
	v_cndmask_b32_e32 v4, v4, v11, vcc
	s_cbranch_scc1 .LBB1_39
.LBB1_40:
	v_mov_b32_e32 v8, 0
	global_load_dwordx2 v[6:7], v8, s[10:11] offset:64
	v_mov_b32_e32 v9, 0x68
	v_mov_b32_e32 v10, 0x64
	;; [unrolled: 1-line block ×5, first 2 shown]
	s_cmp_eq_u32 s17, 2
	s_waitcnt vmcnt(0)
	v_cmp_eq_f64_e32 vcc, v[4:5], v[6:7]
	v_cndmask_b32_e32 v9, v9, v10, vcc
	v_cmp_ngt_f64_e32 vcc, v[4:5], v[6:7]
	v_mov_b32_e32 v6, 0xa4
	v_mov_b32_e32 v7, 0xa0
	v_cndmask_b32_e32 v4, v11, v9, vcc
	v_add_co_u32_e32 v4, vcc, s8, v4
	v_addc_co_u32_e32 v5, vcc, 0, v12, vcc
	global_atomic_add v[4:5], v13, off
	global_load_dwordx2 v[4:5], v8, s[10:11] offset:104
	v_mov_b32_e32 v8, 0x9c
	v_mov_b32_e32 v9, s9
	s_waitcnt vmcnt(0)
	v_cmp_eq_f64_e32 vcc, v[2:3], v[4:5]
	v_cndmask_b32_e32 v6, v6, v7, vcc
	v_cmp_ngt_f64_e32 vcc, v[2:3], v[4:5]
	v_mov_b32_e32 v4, 0
	v_mov_b32_e32 v5, 0
	v_cndmask_b32_e32 v2, v8, v6, vcc
	v_add_co_u32_e32 v2, vcc, s8, v2
	v_addc_co_u32_e32 v3, vcc, 0, v9, vcc
	global_atomic_add v[2:3], v13, off
	v_mov_b32_e32 v2, 0
	v_mov_b32_e32 v3, 0
	s_cbranch_scc1 .LBB1_43
; %bb.41:
	s_mov_b32 s5, 0
	s_mov_b32 s19, s5
	s_lshl_b64 s[12:13], s[18:19], 1
	v_mov_b32_e32 v2, 0
	v_mov_b32_e32 v4, 0
	;; [unrolled: 1-line block ×3, first 2 shown]
	s_add_i32 s4, s17, -2
	v_mov_b32_e32 v3, 0
	v_mov_b32_e32 v8, s13
	;; [unrolled: 1-line block ×4, first 2 shown]
.LBB1_42:                               ; =>This Inner Loop Header: Depth=1
	v_add_co_u32_e32 v9, vcc, s12, v6
	v_addc_co_u32_e32 v10, vcc, v7, v8, vcc
	global_load_ubyte v13, v[6:7], off
	global_load_ubyte v15, v[9:10], off
	v_add_f64 v[9:10], v[4:5], 1.0
	v_add_co_u32_e32 v6, vcc, s18, v6
	s_add_u32 s4, s4, -1
	v_addc_co_u32_e32 v7, vcc, 0, v7, vcc
	s_addc_u32 s5, s5, -1
	s_cmp_lg_u64 s[4:5], 0
	s_waitcnt vmcnt(0)
	v_mul_u32_u24_sdwa v11, v15, v13 dst_sel:DWORD dst_unused:UNUSED_PAD src0_sel:BYTE_0 src1_sel:WORD_0
	v_cvt_f64_u32_e32 v[11:12], v11
	v_cmp_eq_u16_e32 vcc, v13, v15
	v_cndmask_b32_e32 v5, v5, v10, vcc
	v_cndmask_b32_e32 v4, v4, v9, vcc
	v_add_f64 v[2:3], v[2:3], v[11:12]
	s_cbranch_scc1 .LBB1_42
.LBB1_43:
	v_mov_b32_e32 v8, 0
	global_load_dwordx2 v[6:7], v8, s[10:11] offset:72
	v_mov_b32_e32 v9, 0x74
	v_mov_b32_e32 v10, 0x70
	;; [unrolled: 1-line block ×5, first 2 shown]
	s_cmp_eq_u32 s17, 8
	s_waitcnt vmcnt(0)
	v_cmp_eq_f64_e32 vcc, v[4:5], v[6:7]
	v_cndmask_b32_e32 v9, v9, v10, vcc
	v_cmp_ngt_f64_e32 vcc, v[4:5], v[6:7]
	v_mov_b32_e32 v6, 0xb0
	v_mov_b32_e32 v7, 0xac
	v_cndmask_b32_e32 v4, v11, v9, vcc
	v_add_co_u32_e32 v4, vcc, s8, v4
	v_addc_co_u32_e32 v5, vcc, 0, v12, vcc
	global_atomic_add v[4:5], v13, off
	global_load_dwordx2 v[4:5], v8, s[10:11] offset:112
	v_mov_b32_e32 v8, 0xa8
	v_mov_b32_e32 v9, s9
	s_waitcnt vmcnt(0)
	v_cmp_eq_f64_e32 vcc, v[2:3], v[4:5]
	v_cndmask_b32_e32 v6, v6, v7, vcc
	v_cmp_ngt_f64_e32 vcc, v[2:3], v[4:5]
	v_mov_b32_e32 v4, 0
	v_mov_b32_e32 v5, 0
	v_cndmask_b32_e32 v2, v8, v6, vcc
	v_add_co_u32_e32 v2, vcc, s8, v2
	v_addc_co_u32_e32 v3, vcc, 0, v9, vcc
	global_atomic_add v[2:3], v13, off
	v_mov_b32_e32 v2, 0
	v_mov_b32_e32 v3, 0
	s_cbranch_scc1 .LBB1_46
; %bb.44:
	s_mov_b32 s5, 0
	s_mov_b32 s19, s5
	s_lshl_b64 s[12:13], s[18:19], 3
	v_mov_b32_e32 v2, 0
	v_mov_b32_e32 v4, 0
	;; [unrolled: 1-line block ×3, first 2 shown]
	s_add_i32 s4, s17, -8
	v_mov_b32_e32 v3, 0
	v_mov_b32_e32 v8, s13
	;; [unrolled: 1-line block ×4, first 2 shown]
.LBB1_45:                               ; =>This Inner Loop Header: Depth=1
	v_add_co_u32_e32 v9, vcc, s12, v6
	v_addc_co_u32_e32 v10, vcc, v7, v8, vcc
	global_load_ubyte v13, v[6:7], off
	global_load_ubyte v15, v[9:10], off
	v_add_f64 v[9:10], v[4:5], 1.0
	v_add_co_u32_e32 v6, vcc, s18, v6
	s_add_u32 s4, s4, -1
	v_addc_co_u32_e32 v7, vcc, 0, v7, vcc
	s_addc_u32 s5, s5, -1
	s_cmp_lg_u64 s[4:5], 0
	s_waitcnt vmcnt(0)
	v_mul_u32_u24_sdwa v11, v15, v13 dst_sel:DWORD dst_unused:UNUSED_PAD src0_sel:BYTE_0 src1_sel:WORD_0
	v_cvt_f64_u32_e32 v[11:12], v11
	v_cmp_eq_u16_e32 vcc, v13, v15
	v_cndmask_b32_e32 v5, v5, v10, vcc
	v_cndmask_b32_e32 v4, v4, v9, vcc
	v_add_f64 v[2:3], v[2:3], v[11:12]
	s_cbranch_scc1 .LBB1_45
.LBB1_46:
	v_mov_b32_e32 v8, 0
	global_load_dwordx2 v[6:7], v8, s[10:11] offset:80
	v_mov_b32_e32 v9, 0x80
	v_mov_b32_e32 v10, 0x7c
	v_mov_b32_e32 v11, 0x78
	v_mov_b32_e32 v12, s9
	v_mov_b32_e32 v13, 1
	s_cmp_eq_u32 s17, 16
	s_waitcnt vmcnt(0)
	v_cmp_eq_f64_e32 vcc, v[4:5], v[6:7]
	v_cndmask_b32_e32 v9, v9, v10, vcc
	v_cmp_ngt_f64_e32 vcc, v[4:5], v[6:7]
	v_mov_b32_e32 v6, 0xbc
	v_mov_b32_e32 v7, 0xb8
	v_cndmask_b32_e32 v4, v11, v9, vcc
	v_add_co_u32_e32 v4, vcc, s8, v4
	v_addc_co_u32_e32 v5, vcc, 0, v12, vcc
	global_atomic_add v[4:5], v13, off
	global_load_dwordx2 v[4:5], v8, s[10:11] offset:120
	v_mov_b32_e32 v8, 0xb4
	v_mov_b32_e32 v9, s9
	s_waitcnt vmcnt(0)
	v_cmp_eq_f64_e32 vcc, v[2:3], v[4:5]
	v_cndmask_b32_e32 v6, v6, v7, vcc
	v_cmp_ngt_f64_e32 vcc, v[2:3], v[4:5]
	v_mov_b32_e32 v4, 0
	v_mov_b32_e32 v5, 0
	v_cndmask_b32_e32 v2, v8, v6, vcc
	v_add_co_u32_e32 v2, vcc, s8, v2
	v_addc_co_u32_e32 v3, vcc, 0, v9, vcc
	global_atomic_add v[2:3], v13, off
	v_mov_b32_e32 v2, 0
	v_mov_b32_e32 v3, 0
	s_cbranch_scc1 .LBB1_49
; %bb.47:
	s_mov_b32 s5, 0
	s_mov_b32 s19, s5
	s_lshl_b64 s[12:13], s[18:19], 4
	v_mov_b32_e32 v2, 0
	v_mov_b32_e32 v4, 0
	;; [unrolled: 1-line block ×3, first 2 shown]
	s_add_i32 s4, s17, -16
	v_mov_b32_e32 v3, 0
	v_mov_b32_e32 v8, s13
	;; [unrolled: 1-line block ×4, first 2 shown]
.LBB1_48:                               ; =>This Inner Loop Header: Depth=1
	v_add_co_u32_e32 v9, vcc, s12, v6
	v_addc_co_u32_e32 v10, vcc, v7, v8, vcc
	global_load_ubyte v13, v[6:7], off
	global_load_ubyte v15, v[9:10], off
	v_add_f64 v[9:10], v[4:5], 1.0
	v_add_co_u32_e32 v6, vcc, s18, v6
	s_add_u32 s4, s4, -1
	v_addc_co_u32_e32 v7, vcc, 0, v7, vcc
	s_addc_u32 s5, s5, -1
	s_cmp_lg_u64 s[4:5], 0
	s_waitcnt vmcnt(0)
	v_mul_u32_u24_sdwa v11, v15, v13 dst_sel:DWORD dst_unused:UNUSED_PAD src0_sel:BYTE_0 src1_sel:WORD_0
	v_cvt_f64_u32_e32 v[11:12], v11
	v_cmp_eq_u16_e32 vcc, v13, v15
	v_cndmask_b32_e32 v5, v5, v10, vcc
	v_cndmask_b32_e32 v4, v4, v9, vcc
	v_add_f64 v[2:3], v[2:3], v[11:12]
	s_cbranch_scc1 .LBB1_48
.LBB1_49:
	v_mov_b32_e32 v8, 0
	global_load_dwordx2 v[6:7], v8, s[10:11] offset:88
	v_mov_b32_e32 v9, 0x8c
	v_mov_b32_e32 v10, 0x88
	v_mov_b32_e32 v11, 0x84
	v_mov_b32_e32 v12, s9
	v_mov_b32_e32 v13, 1
	s_cmp_eq_u32 s17, 32
	s_waitcnt vmcnt(0)
	v_cmp_eq_f64_e32 vcc, v[4:5], v[6:7]
	v_cndmask_b32_e32 v9, v9, v10, vcc
	v_cmp_ngt_f64_e32 vcc, v[4:5], v[6:7]
	v_mov_b32_e32 v6, 0xc8
	v_mov_b32_e32 v7, 0xc4
	v_cndmask_b32_e32 v4, v11, v9, vcc
	v_add_co_u32_e32 v4, vcc, s8, v4
	v_addc_co_u32_e32 v5, vcc, 0, v12, vcc
	global_atomic_add v[4:5], v13, off
	global_load_dwordx2 v[4:5], v8, s[10:11] offset:128
	v_mov_b32_e32 v8, 0xc0
	v_mov_b32_e32 v9, s9
	s_waitcnt vmcnt(0)
	v_cmp_eq_f64_e32 vcc, v[2:3], v[4:5]
	v_cndmask_b32_e32 v6, v6, v7, vcc
	v_cmp_ngt_f64_e32 vcc, v[2:3], v[4:5]
	v_mov_b32_e32 v4, 0
	v_mov_b32_e32 v5, 0
	v_cndmask_b32_e32 v2, v8, v6, vcc
	v_add_co_u32_e32 v2, vcc, s8, v2
	v_addc_co_u32_e32 v3, vcc, 0, v9, vcc
	global_atomic_add v[2:3], v13, off
	v_mov_b32_e32 v2, 0
	v_mov_b32_e32 v3, 0
	s_cbranch_scc1 .LBB1_52
; %bb.50:
	s_mov_b32 s5, 0
	s_mov_b32 s19, s5
	s_lshl_b64 s[12:13], s[18:19], 5
	v_mov_b32_e32 v2, 0
	v_mov_b32_e32 v4, 0
	s_sub_i32 s4, s17, 32
	v_mov_b32_e32 v3, 0
	v_mov_b32_e32 v5, 0
	;; [unrolled: 1-line block ×3, first 2 shown]
.LBB1_51:                               ; =>This Inner Loop Header: Depth=1
	v_add_co_u32_e32 v7, vcc, s12, v0
	v_addc_co_u32_e32 v8, vcc, v1, v6, vcc
	global_load_ubyte v11, v[0:1], off
	global_load_ubyte v12, v[7:8], off
	v_add_f64 v[7:8], v[4:5], 1.0
	v_add_co_u32_e32 v0, vcc, s18, v0
	s_add_u32 s4, s4, -1
	v_addc_co_u32_e32 v1, vcc, 0, v1, vcc
	s_addc_u32 s5, s5, -1
	s_cmp_lg_u64 s[4:5], 0
	s_waitcnt vmcnt(0)
	v_mul_u32_u24_sdwa v9, v12, v11 dst_sel:DWORD dst_unused:UNUSED_PAD src0_sel:BYTE_0 src1_sel:WORD_0
	v_cvt_f64_u32_e32 v[9:10], v9
	v_cmp_eq_u16_e32 vcc, v11, v12
	v_cndmask_b32_e32 v5, v5, v8, vcc
	v_cndmask_b32_e32 v4, v4, v7, vcc
	v_add_f64 v[2:3], v[2:3], v[9:10]
	s_cbranch_scc1 .LBB1_51
.LBB1_52:
	v_mov_b32_e32 v6, 0
	global_load_dwordx2 v[0:1], v6, s[10:11] offset:96
	v_mov_b32_e32 v7, 0x98
	v_mov_b32_e32 v8, 0x94
	;; [unrolled: 1-line block ×4, first 2 shown]
	s_waitcnt vmcnt(0)
	v_cmp_eq_f64_e32 vcc, v[4:5], v[0:1]
	v_cndmask_b32_e32 v7, v7, v8, vcc
	v_cmp_ngt_f64_e32 vcc, v[4:5], v[0:1]
	v_mov_b32_e32 v4, 1
	v_cndmask_b32_e32 v0, v9, v7, vcc
	v_add_co_u32_e32 v0, vcc, s8, v0
	v_addc_co_u32_e32 v1, vcc, 0, v10, vcc
	global_atomic_add v[0:1], v4, off
	global_load_dwordx2 v[4:5], v6, s[10:11] offset:136
	v_mov_b32_e32 v0, 0xcc
	v_mov_b32_e32 v1, 0
	s_waitcnt vmcnt(0)
	v_cmp_ngt_f64_e32 vcc, v[2:3], v[4:5]
	s_and_saveexec_b64 s[4:5], vcc
	s_cbranch_execz .LBB1_54
; %bb.53:
	v_cmp_eq_f64_e32 vcc, v[2:3], v[4:5]
	v_mov_b32_e32 v0, 0xd4
	v_mov_b32_e32 v1, 0xd0
	v_cndmask_b32_e32 v5, v0, v1, vcc
	v_mov_b32_e32 v0, v5
	v_mov_b32_e32 v1, v6
.LBB1_54:
	s_or_b64 exec, exec, s[4:5]
	s_mov_b64 s[4:5], -1
	s_and_b64 vcc, exec, s[6:7]
	s_cbranch_vccz .LBB1_8
.LBB1_55:
	v_mov_b32_e32 v1, 0
	s_cmp_eq_u32 s17, 0
	s_mov_b32 s7, 0
	buffer_store_dword v1, off, s[0:3], 0 offset:252
	buffer_store_dword v1, off, s[0:3], 0 offset:248
	buffer_store_dword v1, off, s[0:3], 0 offset:244
	buffer_store_dword v1, off, s[0:3], 0 offset:240
	buffer_store_dword v1, off, s[0:3], 0 offset:236
	buffer_store_dword v1, off, s[0:3], 0 offset:232
	buffer_store_dword v1, off, s[0:3], 0 offset:228
	buffer_store_dword v1, off, s[0:3], 0 offset:224
	buffer_store_dword v1, off, s[0:3], 0 offset:220
	buffer_store_dword v1, off, s[0:3], 0 offset:216
	buffer_store_dword v1, off, s[0:3], 0 offset:212
	buffer_store_dword v1, off, s[0:3], 0 offset:208
	buffer_store_dword v1, off, s[0:3], 0 offset:204
	buffer_store_dword v1, off, s[0:3], 0 offset:200
	buffer_store_dword v1, off, s[0:3], 0 offset:196
	buffer_store_dword v1, off, s[0:3], 0 offset:192
	buffer_store_dword v1, off, s[0:3], 0 offset:188
	buffer_store_dword v1, off, s[0:3], 0 offset:184
	buffer_store_dword v1, off, s[0:3], 0 offset:180
	buffer_store_dword v1, off, s[0:3], 0 offset:176
	buffer_store_dword v1, off, s[0:3], 0 offset:172
	buffer_store_dword v1, off, s[0:3], 0 offset:168
	buffer_store_dword v1, off, s[0:3], 0 offset:164
	buffer_store_dword v1, off, s[0:3], 0 offset:160
	buffer_store_dword v1, off, s[0:3], 0 offset:156
	buffer_store_dword v1, off, s[0:3], 0 offset:152
	buffer_store_dword v1, off, s[0:3], 0 offset:148
	buffer_store_dword v1, off, s[0:3], 0 offset:144
	buffer_store_dword v1, off, s[0:3], 0 offset:140
	buffer_store_dword v1, off, s[0:3], 0 offset:136
	buffer_store_dword v1, off, s[0:3], 0 offset:132
	buffer_store_dword v1, off, s[0:3], 0 offset:128
	buffer_store_dword v1, off, s[0:3], 0 offset:124
	buffer_store_dword v1, off, s[0:3], 0 offset:120
	buffer_store_dword v1, off, s[0:3], 0 offset:116
	buffer_store_dword v1, off, s[0:3], 0 offset:112
	buffer_store_dword v1, off, s[0:3], 0 offset:108
	buffer_store_dword v1, off, s[0:3], 0 offset:104
	buffer_store_dword v1, off, s[0:3], 0 offset:100
	buffer_store_dword v1, off, s[0:3], 0 offset:96
	buffer_store_dword v1, off, s[0:3], 0 offset:92
	buffer_store_dword v1, off, s[0:3], 0 offset:88
	buffer_store_dword v1, off, s[0:3], 0 offset:84
	buffer_store_dword v1, off, s[0:3], 0 offset:80
	buffer_store_dword v1, off, s[0:3], 0 offset:76
	buffer_store_dword v1, off, s[0:3], 0 offset:72
	buffer_store_dword v1, off, s[0:3], 0 offset:68
	buffer_store_dword v1, off, s[0:3], 0 offset:64
	buffer_store_dword v1, off, s[0:3], 0 offset:60
	buffer_store_dword v1, off, s[0:3], 0 offset:56
	buffer_store_dword v1, off, s[0:3], 0 offset:52
	buffer_store_dword v1, off, s[0:3], 0 offset:48
	buffer_store_dword v1, off, s[0:3], 0 offset:44
	buffer_store_dword v1, off, s[0:3], 0 offset:40
	buffer_store_dword v1, off, s[0:3], 0 offset:36
	buffer_store_dword v1, off, s[0:3], 0 offset:32
	buffer_store_dword v1, off, s[0:3], 0 offset:28
	buffer_store_dword v1, off, s[0:3], 0 offset:24
	buffer_store_dword v1, off, s[0:3], 0 offset:20
	buffer_store_dword v1, off, s[0:3], 0 offset:16
	buffer_store_dword v1, off, s[0:3], 0 offset:12
	buffer_store_dword v1, off, s[0:3], 0 offset:8
	buffer_store_dword v1, off, s[0:3], 0 offset:4
	buffer_store_dword v1, off, s[0:3], 0
	s_cbranch_scc1 .LBB1_74
; %bb.56:
	s_lshl_b32 s12, 1, s16
	s_cmp_gt_u32 s16, 1
	s_cselect_b64 s[4:5], -1, 0
	v_mov_b32_e32 v0, s21
	v_add_co_u32_e32 v4, vcc, s20, v14
	v_addc_co_u32_e32 v5, vcc, 0, v0, vcc
	v_mov_b32_e32 v2, 0
	v_mov_b32_e32 v8, 0
	;; [unrolled: 1-line block ×3, first 2 shown]
	v_cndmask_b32_e64 v0, 0, 1, s[4:5]
	s_mov_b32 s6, s17
	s_mov_b32 s13, s7
	s_and_b32 s14, s12, -4
	s_mov_b32 s15, s7
	v_mov_b32_e32 v3, 0
	s_mov_b64 s[16:17], 0
	v_mov_b32_e32 v9, 0
	v_mov_b32_e32 v7, 0
	v_cmp_ne_u32_e64 s[4:5], 1, v0
	v_mov_b32_e32 v14, 1
	v_mov_b32_e32 v0, v1
	;; [unrolled: 1-line block ×3, first 2 shown]
	s_branch .LBB1_59
.LBB1_57:                               ;   in Loop: Header=BB1_59 Depth=1
	s_or_b64 exec, exec, s[22:23]
.LBB1_58:                               ;   in Loop: Header=BB1_59 Depth=1
	s_or_b64 exec, exec, s[20:21]
	v_add_co_u32_e32 v6, vcc, 1, v6
	v_addc_co_u32_e32 v7, vcc, 0, v7, vcc
	v_add_co_u32_e32 v10, vcc, v8, v6
	v_addc_co_u32_e32 v11, vcc, v9, v7, vcc
	v_cmp_le_u64_e32 vcc, s[6:7], v[10:11]
	s_or_b64 s[16:17], vcc, s[16:17]
	s_andn2_b64 exec, exec, s[16:17]
	s_cbranch_execz .LBB1_73
.LBB1_59:                               ; =>This Loop Header: Depth=1
                                        ;     Child Loop BB1_61 Depth 2
                                        ;     Child Loop BB1_65 Depth 2
	;; [unrolled: 1-line block ×3, first 2 shown]
	s_and_b64 vcc, exec, s[4:5]
	s_mov_b64 s[20:21], -1
	s_cbranch_vccnz .LBB1_63
; %bb.60:                               ;   in Loop: Header=BB1_59 Depth=1
	s_mov_b32 s19, 0
	s_mov_b64 s[20:21], s[14:15]
.LBB1_61:                               ;   Parent Loop BB1_59 Depth=1
                                        ; =>  This Inner Loop Header: Depth=2
	s_add_u32 s20, s20, -4
	v_mov_b32_e32 v10, s19
	s_addc_u32 s21, s21, -1
	s_add_i32 s19, s19, 4
	s_cmp_lg_u64 s[20:21], 0
	buffer_store_dword v1, v10, s[0:3], 0 offen
	s_cbranch_scc1 .LBB1_61
; %bb.62:                               ;   in Loop: Header=BB1_59 Depth=1
	s_mov_b64 s[20:21], 0
.LBB1_63:                               ;   in Loop: Header=BB1_59 Depth=1
	s_and_b64 vcc, exec, s[20:21]
	s_cbranch_vccz .LBB1_66
; %bb.64:                               ;   in Loop: Header=BB1_59 Depth=1
	s_mov_b32 s19, 0
	s_mov_b64 s[20:21], s[12:13]
.LBB1_65:                               ;   Parent Loop BB1_59 Depth=1
                                        ; =>  This Inner Loop Header: Depth=2
	s_add_u32 s20, s20, -1
	v_mov_b32_e32 v10, s19
	s_addc_u32 s21, s21, -1
	s_add_i32 s19, s19, 1
	s_cmp_eq_u64 s[20:21], 0
	buffer_store_byte v1, v10, s[0:3], 0 offen
	s_cbranch_scc0 .LBB1_65
.LBB1_66:                               ;   in Loop: Header=BB1_59 Depth=1
	v_add_co_u32_e32 v10, vcc, v6, v8
	v_addc_co_u32_e32 v11, vcc, v7, v9, vcc
	v_cmp_gt_u64_e32 vcc, s[6:7], v[10:11]
	s_and_saveexec_b64 s[20:21], vcc
	s_cbranch_execz .LBB1_58
; %bb.67:                               ;   in Loop: Header=BB1_59 Depth=1
	v_mad_u64_u32 v[12:13], s[22:23], s18, v10, v[4:5]
	s_mov_b64 s[24:25], 0
                                        ; implicit-def: $sgpr28_sgpr29
                                        ; implicit-def: $sgpr26_sgpr27
	v_mov_b32_e32 v10, v13
	v_mad_u64_u32 v[10:11], s[22:23], s18, v11, v[10:11]
                                        ; implicit-def: $sgpr22_sgpr23
	v_mov_b32_e32 v13, v10
	s_branch .LBB1_69
.LBB1_68:                               ;   in Loop: Header=BB1_69 Depth=2
	s_or_b64 exec, exec, s[30:31]
	s_and_b64 s[30:31], exec, s[28:29]
	s_or_b64 s[24:25], s[30:31], s[24:25]
	s_andn2_b64 s[22:23], s[22:23], exec
	s_and_b64 s[30:31], s[26:27], exec
	s_or_b64 s[22:23], s[22:23], s[30:31]
	s_andn2_b64 exec, exec, s[24:25]
	s_cbranch_execz .LBB1_71
.LBB1_69:                               ;   Parent Loop BB1_59 Depth=1
                                        ; =>  This Inner Loop Header: Depth=2
	global_load_ubyte v10, v[12:13], off
	s_or_b64 s[26:27], s[26:27], exec
	s_or_b64 s[28:29], s[28:29], exec
	s_waitcnt vmcnt(0)
	v_mov_b32_e32 v16, v10
	buffer_load_ubyte v17, v16, s[0:3], 0 offen
	v_mov_b32_e32 v11, v9
	v_mov_b32_e32 v10, v8
	s_waitcnt vmcnt(0)
	v_and_b32_e32 v8, 1, v17
	v_cmp_eq_u32_e32 vcc, 1, v8
	s_xor_b64 s[34:35], vcc, -1
                                        ; implicit-def: $vgpr8_vgpr9
	s_and_saveexec_b64 s[30:31], s[34:35]
	s_cbranch_execz .LBB1_68
; %bb.70:                               ;   in Loop: Header=BB1_69 Depth=2
	v_add_co_u32_e32 v8, vcc, 1, v10
	v_addc_co_u32_e32 v9, vcc, 0, v11, vcc
	buffer_store_byte v14, v16, s[0:3], 0 offen
	v_add_co_u32_e32 v16, vcc, v6, v8
	v_addc_co_u32_e32 v17, vcc, v7, v9, vcc
	v_add_co_u32_e32 v12, vcc, s18, v12
	v_addc_co_u32_e32 v13, vcc, 0, v13, vcc
	v_cmp_le_u64_e32 vcc, s[6:7], v[16:17]
	s_andn2_b64 s[28:29], s[28:29], exec
	s_and_b64 s[34:35], vcc, exec
	s_andn2_b64 s[26:27], s[26:27], exec
	s_or_b64 s[28:29], s[28:29], s[34:35]
	s_branch .LBB1_68
.LBB1_71:                               ;   in Loop: Header=BB1_59 Depth=1
	s_or_b64 exec, exec, s[24:25]
	s_and_saveexec_b64 s[24:25], s[22:23]
	s_xor_b64 s[22:23], exec, s[24:25]
	s_cbranch_execz .LBB1_57
; %bb.72:                               ;   in Loop: Header=BB1_59 Depth=1
	v_cvt_f64_u32_e32 v[8:9], v11
	v_cvt_f64_u32_e32 v[12:13], v10
	v_add_co_u32_e32 v6, vcc, v6, v10
	v_ldexp_f64 v[8:9], v[8:9], 32
	v_addc_co_u32_e32 v7, vcc, v7, v11, vcc
	v_cmp_gt_u64_e32 vcc, v[10:11], v[0:1]
	v_add_u32_e32 v15, 1, v15
	v_cndmask_b32_e32 v0, v0, v10, vcc
	v_add_f64 v[8:9], v[8:9], v[12:13]
	v_add_f64 v[2:3], v[2:3], v[8:9]
	v_mov_b32_e32 v8, 0
	v_mov_b32_e32 v9, 0
	s_branch .LBB1_57
.LBB1_73:
	s_or_b64 exec, exec, s[16:17]
	v_cvt_f64_u32_e32 v[4:5], v15
	v_div_scale_f64 v[6:7], s[4:5], v[4:5], v[4:5], v[2:3]
	v_div_scale_f64 v[12:13], vcc, v[2:3], v[4:5], v[2:3]
	v_rcp_f64_e32 v[8:9], v[6:7]
	v_fma_f64 v[10:11], -v[6:7], v[8:9], 1.0
	v_fma_f64 v[8:9], v[8:9], v[10:11], v[8:9]
	v_fma_f64 v[10:11], -v[6:7], v[8:9], 1.0
	v_fma_f64 v[8:9], v[8:9], v[10:11], v[8:9]
	v_mul_f64 v[10:11], v[12:13], v[8:9]
	v_fma_f64 v[6:7], -v[6:7], v[10:11], v[12:13]
	v_div_fmas_f64 v[6:7], v[6:7], v[8:9], v[10:11]
	v_div_fixup_f64 v[5:6], v[6:7], v[4:5], v[2:3]
	v_cvt_f64_u32_e32 v[2:3], v0
	s_branch .LBB1_75
.LBB1_74:
	v_mov_b32_e32 v2, 0
	v_mov_b32_e32 v5, 0
	;; [unrolled: 1-line block ×4, first 2 shown]
.LBB1_75:
	v_mov_b32_e32 v4, 0
	global_load_dwordx2 v[0:1], v4, s[10:11] offset:48
	v_mov_b32_e32 v7, 0x50
	v_mov_b32_e32 v8, 0x4c
	;; [unrolled: 1-line block ×4, first 2 shown]
	s_waitcnt vmcnt(0)
	v_cmp_eq_f64_e32 vcc, v[5:6], v[0:1]
	v_cndmask_b32_e32 v7, v7, v8, vcc
	v_cmp_ngt_f64_e32 vcc, v[5:6], v[0:1]
	v_mov_b32_e32 v5, 1
	v_cndmask_b32_e32 v0, v9, v7, vcc
	v_add_co_u32_e32 v0, vcc, s8, v0
	v_addc_co_u32_e32 v1, vcc, 0, v10, vcc
	global_atomic_add v[0:1], v5, off
	global_load_dwordx2 v[5:6], v4, s[10:11] offset:56
	v_mov_b32_e32 v0, 0x54
	v_mov_b32_e32 v1, 0
	s_waitcnt vmcnt(0)
	v_cmp_ngt_f64_e32 vcc, v[2:3], v[5:6]
	s_and_saveexec_b64 s[4:5], vcc
	s_cbranch_execz .LBB1_77
; %bb.76:
	v_cmp_eq_f64_e32 vcc, v[2:3], v[5:6]
	v_mov_b32_e32 v0, 0x5c
	v_mov_b32_e32 v1, 0x58
	v_cndmask_b32_e32 v3, v0, v1, vcc
	v_mov_b32_e32 v0, v3
	v_mov_b32_e32 v1, v4
.LBB1_77:
	s_or_b64 exec, exec, s[4:5]
	s_cbranch_execz .LBB1_9
.LBB1_78:
	v_mov_b32_e32 v2, s9
	v_add_co_u32_e32 v0, vcc, s8, v0
	v_addc_co_u32_e32 v1, vcc, v2, v1, vcc
	v_mov_b32_e32 v2, 1
	global_atomic_add v[0:1], v2, off
	s_endpgm
	.section	.rodata,"a",@progbits
	.p2align	6, 0x0
	.amdhsa_kernel _Z24statistical_tests_kernelPjPKdddPKhjjjj
		.amdhsa_group_segment_fixed_size 0
		.amdhsa_private_segment_fixed_size 272
		.amdhsa_kernarg_size 312
		.amdhsa_user_sgpr_count 6
		.amdhsa_user_sgpr_private_segment_buffer 1
		.amdhsa_user_sgpr_dispatch_ptr 0
		.amdhsa_user_sgpr_queue_ptr 0
		.amdhsa_user_sgpr_kernarg_segment_ptr 1
		.amdhsa_user_sgpr_dispatch_id 0
		.amdhsa_user_sgpr_flat_scratch_init 0
		.amdhsa_user_sgpr_private_segment_size 0
		.amdhsa_uses_dynamic_stack 0
		.amdhsa_system_sgpr_private_segment_wavefront_offset 1
		.amdhsa_system_sgpr_workgroup_id_x 1
		.amdhsa_system_sgpr_workgroup_id_y 0
		.amdhsa_system_sgpr_workgroup_id_z 0
		.amdhsa_system_sgpr_workgroup_info 0
		.amdhsa_system_vgpr_workitem_id 0
		.amdhsa_next_free_vgpr 21
		.amdhsa_next_free_sgpr 36
		.amdhsa_reserve_vcc 1
		.amdhsa_reserve_flat_scratch 0
		.amdhsa_float_round_mode_32 0
		.amdhsa_float_round_mode_16_64 0
		.amdhsa_float_denorm_mode_32 3
		.amdhsa_float_denorm_mode_16_64 3
		.amdhsa_dx10_clamp 1
		.amdhsa_ieee_mode 1
		.amdhsa_fp16_overflow 0
		.amdhsa_exception_fp_ieee_invalid_op 0
		.amdhsa_exception_fp_denorm_src 0
		.amdhsa_exception_fp_ieee_div_zero 0
		.amdhsa_exception_fp_ieee_overflow 0
		.amdhsa_exception_fp_ieee_underflow 0
		.amdhsa_exception_fp_ieee_inexact 0
		.amdhsa_exception_int_div_zero 0
	.end_amdhsa_kernel
	.text
.Lfunc_end1:
	.size	_Z24statistical_tests_kernelPjPKdddPKhjjjj, .Lfunc_end1-_Z24statistical_tests_kernelPjPKdddPKhjjjj
                                        ; -- End function
	.set _Z24statistical_tests_kernelPjPKdddPKhjjjj.num_vgpr, 21
	.set _Z24statistical_tests_kernelPjPKdddPKhjjjj.num_agpr, 0
	.set _Z24statistical_tests_kernelPjPKdddPKhjjjj.numbered_sgpr, 36
	.set _Z24statistical_tests_kernelPjPKdddPKhjjjj.num_named_barrier, 0
	.set _Z24statistical_tests_kernelPjPKdddPKhjjjj.private_seg_size, 272
	.set _Z24statistical_tests_kernelPjPKdddPKhjjjj.uses_vcc, 1
	.set _Z24statistical_tests_kernelPjPKdddPKhjjjj.uses_flat_scratch, 0
	.set _Z24statistical_tests_kernelPjPKdddPKhjjjj.has_dyn_sized_stack, 0
	.set _Z24statistical_tests_kernelPjPKdddPKhjjjj.has_recursion, 0
	.set _Z24statistical_tests_kernelPjPKdddPKhjjjj.has_indirect_call, 0
	.section	.AMDGPU.csdata,"",@progbits
; Kernel info:
; codeLenInByte = 4236
; TotalNumSgprs: 40
; NumVgprs: 21
; ScratchSize: 272
; MemoryBound: 0
; FloatMode: 240
; IeeeMode: 1
; LDSByteSize: 0 bytes/workgroup (compile time only)
; SGPRBlocks: 4
; VGPRBlocks: 5
; NumSGPRsForWavesPerEU: 40
; NumVGPRsForWavesPerEU: 21
; Occupancy: 10
; WaveLimiterHint : 0
; COMPUTE_PGM_RSRC2:SCRATCH_EN: 1
; COMPUTE_PGM_RSRC2:USER_SGPR: 6
; COMPUTE_PGM_RSRC2:TRAP_HANDLER: 0
; COMPUTE_PGM_RSRC2:TGID_X_EN: 1
; COMPUTE_PGM_RSRC2:TGID_Y_EN: 0
; COMPUTE_PGM_RSRC2:TGID_Z_EN: 0
; COMPUTE_PGM_RSRC2:TIDIG_COMP_CNT: 0
	.text
	.protected	_Z23binary_shuffling_kernelPhS_PKhjjj ; -- Begin function _Z23binary_shuffling_kernelPhS_PKhjjj
	.globl	_Z23binary_shuffling_kernelPhS_PKhjjj
	.p2align	8
	.type	_Z23binary_shuffling_kernelPhS_PKhjjj,@function
_Z23binary_shuffling_kernelPhS_PKhjjj:  ; @_Z23binary_shuffling_kernelPhS_PKhjjj
; %bb.0:
	s_load_dword s7, s[4:5], 0x34
	s_load_dwordx4 s[0:3], s[4:5], 0x18
	s_load_dwordx4 s[8:11], s[4:5], 0x0
	s_load_dwordx2 s[12:13], s[4:5], 0x10
	s_waitcnt lgkmcnt(0)
	s_and_b32 s3, s7, 0xffff
	s_mul_i32 s3, s6, s3
	s_cmp_eq_u32 s0, 0
	v_add_u32_e32 v1, s3, v0
	s_cbranch_scc1 .LBB2_4
; %bb.1:
	v_mov_b32_e32 v3, 0
	v_mov_b32_e32 v4, v1
	s_mov_b32 s4, s0
	v_mov_b32_e32 v2, 0
.LBB2_2:                                ; =>This Inner Loop Header: Depth=1
	global_load_ubyte v5, v3, s[12:13]
	s_add_i32 s4, s4, -1
	s_add_u32 s12, s12, 1
	s_addc_u32 s13, s13, 0
	s_cmp_lg_u32 s4, 0
	s_waitcnt vmcnt(0)
	global_store_byte v4, v5, s[8:9]
	v_add_u32_sdwa v2, v2, v5 dst_sel:DWORD dst_unused:UNUSED_PAD src0_sel:DWORD src1_sel:BYTE_0
	v_add_u32_e32 v4, s2, v4
	s_cbranch_scc1 .LBB2_2
; %bb.3:
	s_add_i32 s4, s0, -1
	s_cmp_eq_u32 s4, 0
	s_cbranch_scc0 .LBB2_5
	s_branch .LBB2_7
.LBB2_4:
	v_mov_b32_e32 v2, 0
	s_add_i32 s4, s0, -1
	s_cmp_eq_u32 s4, 0
	s_cbranch_scc1 .LBB2_7
.LBB2_5:
	s_mul_i32 s5, s2, s4
	s_sub_i32 s0, 1, s0
	s_add_i32 s5, s3, s5
	v_xor_b32_e32 v2, v2, v1
	v_add_u32_e32 v4, s5, v0
	v_mov_b32_e32 v5, s0
	s_mov_b32 s0, 0xe48e2825
.LBB2_6:                                ; =>This Inner Loop Header: Depth=1
	v_cvt_f32_u32_e32 v6, s4
	v_mad_u64_u32 v[2:3], s[6:7], v2, s0, 1
	v_rcp_iflag_f32_e32 v3, v6
	v_mul_f32_e32 v3, 0x4f7ffffe, v3
	v_cvt_u32_f32_e32 v3, v3
	v_mul_lo_u32 v6, v5, v3
	v_mul_hi_u32 v6, v3, v6
	v_add_u32_e32 v3, v3, v6
	v_mul_hi_u32 v3, v2, v3
	v_mul_lo_u32 v3, v3, s4
	v_sub_u32_e32 v3, v2, v3
	v_subrev_u32_e32 v6, s4, v3
	v_cmp_le_u32_e32 vcc, s4, v3
	v_cndmask_b32_e32 v3, v3, v6, vcc
	v_add_u32_e32 v6, v3, v5
	v_cmp_le_u32_e32 vcc, s4, v3
	v_cndmask_b32_e32 v3, v3, v6, vcc
	v_mad_u64_u32 v[6:7], s[6:7], v3, s2, v[1:2]
	global_load_ubyte v3, v4, s[8:9]
	global_load_ubyte v7, v6, s[8:9]
	v_add_co_u32_e32 v5, vcc, 1, v5
	s_add_i32 s4, s4, -1
	s_and_b64 vcc, exec, vcc
	s_waitcnt vmcnt(1)
	global_store_byte v6, v3, s[8:9]
	s_waitcnt vmcnt(1)
	global_store_byte v4, v7, s[8:9]
	v_subrev_u32_e32 v4, s2, v4
	s_cbranch_vccz .LBB2_6
.LBB2_7:
	s_cmp_eq_u32 s1, 0
	s_cbranch_scc1 .LBB2_10
; %bb.8:
	v_mad_u64_u32 v[1:2], s[4:5], s2, 3, v[0:1]
	v_add_u32_e32 v6, s2, v0
	s_lshl_b32 s0, s2, 3
	v_mad_u64_u32 v[2:3], s[4:5], s2, 5, v[0:1]
	v_mad_u64_u32 v[3:4], s[4:5], s2, 6, v[0:1]
	;; [unrolled: 1-line block ×3, first 2 shown]
	v_lshl_add_u32 v5, s2, 1, v0
	v_lshl_add_u32 v7, s2, 2, v0
	v_mov_b32_e32 v8, v0
.LBB2_9:                                ; =>This Inner Loop Header: Depth=1
	v_add_u32_e32 v9, s3, v0
	v_add_u32_e32 v10, s3, v6
	v_add_u32_e32 v11, s3, v5
	v_add_u32_e32 v12, s3, v1
	v_add_u32_e32 v13, s3, v7
	v_add_u32_e32 v14, s3, v2
	global_load_ubyte v15, v9, s[8:9]
	global_load_ubyte v16, v10, s[8:9]
	;; [unrolled: 1-line block ×6, first 2 shown]
	v_add_u32_e32 v9, s3, v3
	global_load_ubyte v9, v9, s[8:9]
	v_add_u32_e32 v10, s3, v4
	global_load_ubyte v10, v10, s[8:9]
	s_add_i32 s1, s1, -1
	v_add_u32_e32 v6, s0, v6
	v_add_u32_e32 v5, s0, v5
	;; [unrolled: 1-line block ×8, first 2 shown]
	s_cmp_lg_u32 s1, 0
	s_waitcnt vmcnt(7)
	v_lshlrev_b16_e32 v11, 7, v15
	s_waitcnt vmcnt(6)
	v_lshlrev_b16_e32 v12, 6, v16
	v_and_b32_e32 v12, 64, v12
	v_or_b32_e32 v11, v12, v11
	s_waitcnt vmcnt(5)
	v_lshlrev_b16_e32 v12, 5, v17
	v_and_b32_e32 v12, 32, v12
	v_or_b32_e32 v11, v11, v12
	s_waitcnt vmcnt(4)
	v_lshlrev_b16_e32 v12, 4, v18
	v_and_b32_e32 v12, 16, v12
	s_waitcnt vmcnt(3)
	v_lshlrev_b16_e32 v13, 3, v19
	v_or_b32_e32 v11, v11, v12
	s_waitcnt vmcnt(2)
	v_lshlrev_b16_e32 v14, 2, v20
	v_and_b32_e32 v13, 8, v13
	s_waitcnt vmcnt(1)
	v_lshlrev_b16_e32 v9, 1, v9
	v_and_b32_e32 v14, 4, v14
	v_or_b32_e32 v11, v11, v13
	v_and_b32_e32 v9, 2, v9
	v_or_b32_e32 v11, v11, v14
	s_waitcnt vmcnt(0)
	v_and_b32_e32 v10, 1, v10
	v_or_b32_e32 v9, v11, v9
	v_add_u32_e32 v12, s3, v8
	v_add_u32_e32 v8, s2, v8
	v_xor_b32_e32 v9, v9, v10
	global_store_byte v12, v9, s[10:11]
	s_cbranch_scc1 .LBB2_9
.LBB2_10:
	s_endpgm
	.section	.rodata,"a",@progbits
	.p2align	6, 0x0
	.amdhsa_kernel _Z23binary_shuffling_kernelPhS_PKhjjj
		.amdhsa_group_segment_fixed_size 0
		.amdhsa_private_segment_fixed_size 0
		.amdhsa_kernarg_size 296
		.amdhsa_user_sgpr_count 6
		.amdhsa_user_sgpr_private_segment_buffer 1
		.amdhsa_user_sgpr_dispatch_ptr 0
		.amdhsa_user_sgpr_queue_ptr 0
		.amdhsa_user_sgpr_kernarg_segment_ptr 1
		.amdhsa_user_sgpr_dispatch_id 0
		.amdhsa_user_sgpr_flat_scratch_init 0
		.amdhsa_user_sgpr_private_segment_size 0
		.amdhsa_uses_dynamic_stack 0
		.amdhsa_system_sgpr_private_segment_wavefront_offset 0
		.amdhsa_system_sgpr_workgroup_id_x 1
		.amdhsa_system_sgpr_workgroup_id_y 0
		.amdhsa_system_sgpr_workgroup_id_z 0
		.amdhsa_system_sgpr_workgroup_info 0
		.amdhsa_system_vgpr_workitem_id 0
		.amdhsa_next_free_vgpr 21
		.amdhsa_next_free_sgpr 14
		.amdhsa_reserve_vcc 1
		.amdhsa_reserve_flat_scratch 0
		.amdhsa_float_round_mode_32 0
		.amdhsa_float_round_mode_16_64 0
		.amdhsa_float_denorm_mode_32 3
		.amdhsa_float_denorm_mode_16_64 3
		.amdhsa_dx10_clamp 1
		.amdhsa_ieee_mode 1
		.amdhsa_fp16_overflow 0
		.amdhsa_exception_fp_ieee_invalid_op 0
		.amdhsa_exception_fp_denorm_src 0
		.amdhsa_exception_fp_ieee_div_zero 0
		.amdhsa_exception_fp_ieee_overflow 0
		.amdhsa_exception_fp_ieee_underflow 0
		.amdhsa_exception_fp_ieee_inexact 0
		.amdhsa_exception_int_div_zero 0
	.end_amdhsa_kernel
	.text
.Lfunc_end2:
	.size	_Z23binary_shuffling_kernelPhS_PKhjjj, .Lfunc_end2-_Z23binary_shuffling_kernelPhS_PKhjjj
                                        ; -- End function
	.set _Z23binary_shuffling_kernelPhS_PKhjjj.num_vgpr, 21
	.set _Z23binary_shuffling_kernelPhS_PKhjjj.num_agpr, 0
	.set _Z23binary_shuffling_kernelPhS_PKhjjj.numbered_sgpr, 14
	.set _Z23binary_shuffling_kernelPhS_PKhjjj.num_named_barrier, 0
	.set _Z23binary_shuffling_kernelPhS_PKhjjj.private_seg_size, 0
	.set _Z23binary_shuffling_kernelPhS_PKhjjj.uses_vcc, 1
	.set _Z23binary_shuffling_kernelPhS_PKhjjj.uses_flat_scratch, 0
	.set _Z23binary_shuffling_kernelPhS_PKhjjj.has_dyn_sized_stack, 0
	.set _Z23binary_shuffling_kernelPhS_PKhjjj.has_recursion, 0
	.set _Z23binary_shuffling_kernelPhS_PKhjjj.has_indirect_call, 0
	.section	.AMDGPU.csdata,"",@progbits
; Kernel info:
; codeLenInByte = 696
; TotalNumSgprs: 18
; NumVgprs: 21
; ScratchSize: 0
; MemoryBound: 0
; FloatMode: 240
; IeeeMode: 1
; LDSByteSize: 0 bytes/workgroup (compile time only)
; SGPRBlocks: 2
; VGPRBlocks: 5
; NumSGPRsForWavesPerEU: 18
; NumVGPRsForWavesPerEU: 21
; Occupancy: 10
; WaveLimiterHint : 0
; COMPUTE_PGM_RSRC2:SCRATCH_EN: 0
; COMPUTE_PGM_RSRC2:USER_SGPR: 6
; COMPUTE_PGM_RSRC2:TRAP_HANDLER: 0
; COMPUTE_PGM_RSRC2:TGID_X_EN: 1
; COMPUTE_PGM_RSRC2:TGID_Y_EN: 0
; COMPUTE_PGM_RSRC2:TGID_Z_EN: 0
; COMPUTE_PGM_RSRC2:TIDIG_COMP_CNT: 0
	.text
	.protected	_Z31binary_statistical_tests_kernelPjPKdddPKhS3_jjjjj ; -- Begin function _Z31binary_statistical_tests_kernelPjPKdddPKhS3_jjjjj
	.globl	_Z31binary_statistical_tests_kernelPjPKdddPKhS3_jjjjj
	.p2align	8
	.type	_Z31binary_statistical_tests_kernelPjPKdddPKhS3_jjjjj,@function
_Z31binary_statistical_tests_kernelPjPKdddPKhS3_jjjjj: ; @_Z31binary_statistical_tests_kernelPjPKdddPKhS3_jjjjj
; %bb.0:
	s_load_dwordx4 s[16:19], s[4:5], 0x34
	s_load_dwordx4 s[20:23], s[4:5], 0x20
	s_add_u32 s0, s0, s7
	s_addc_u32 s1, s1, 0
	s_load_dwordx8 s[8:15], s[4:5], 0x0
	s_load_dword s7, s[4:5], 0x54
	s_waitcnt lgkmcnt(0)
	v_cvt_f32_u32_e32 v1, s19
	s_sub_i32 s4, 0, s19
	v_rcp_iflag_f32_e32 v1, v1
	v_mul_f32_e32 v1, 0x4f7ffffe, v1
	v_cvt_u32_f32_e32 v1, v1
	v_readfirstlane_b32 s5, v1
	s_mul_i32 s4, s4, s5
	s_mul_hi_u32 s4, s5, s4
	s_add_i32 s5, s5, s4
	s_mul_hi_u32 s4, s6, s5
	s_mul_i32 s5, s4, s19
	s_sub_i32 s5, s6, s5
	s_add_i32 s24, s4, 1
	s_sub_i32 s25, s5, s19
	s_cmp_ge_u32 s5, s19
	s_cselect_b32 s4, s24, s4
	s_cselect_b32 s5, s25, s5
	s_add_i32 s24, s4, 1
	s_cmp_ge_u32 s5, s19
	s_cselect_b32 s38, s24, s4
	s_mul_i32 s5, s38, s19
	s_and_b32 s4, s7, 0xffff
	s_sub_i32 s33, s6, s5
	s_mul_i32 s33, s33, s4
	s_cmp_le_u32 s19, s6
	v_add_u32_e32 v15, s33, v0
	s_cbranch_scc0 .LBB3_36
; %bb.1:
	s_cmp_lt_i32 s38, 2
	s_cbranch_scc1 .LBB3_37
; %bb.2:
	s_cmp_gt_i32 s38, 2
	s_cbranch_scc0 .LBB3_38
; %bb.3:
	s_mov_b64 s[4:5], 0
	s_cmp_eq_u32 s38, 3
	s_mov_b64 s[6:7], 0
                                        ; implicit-def: $vgpr1_vgpr2
	s_cbranch_scc0 .LBB3_24
; %bb.4:
	v_mov_b32_e32 v1, 0
	v_mov_b32_e32 v3, 0
	;; [unrolled: 1-line block ×3, first 2 shown]
	s_cmp_eq_u32 s17, 1
	v_mov_b32_e32 v4, 0
	s_cbranch_scc1 .LBB3_7
; %bb.5:
	global_load_ubyte v5, v15, s[22:23]
	v_mov_b32_e32 v1, 0
	v_mov_b32_e32 v3, 0
	s_add_i32 s6, s17, -1
	v_mov_b32_e32 v2, 0
	s_mov_b32 s7, 0xffff
	v_mov_b32_e32 v4, 0
	v_mov_b32_e32 v6, v15
.LBB3_6:                                ; =>This Inner Loop Header: Depth=1
	v_add_u32_e32 v6, s18, v6
	s_waitcnt vmcnt(0)
	v_lshrrev_b16_e32 v7, 7, v5
	v_lshrrev_b16_e32 v8, 6, v5
	v_lshrrev_b16_e32 v9, 5, v5
	v_lshrrev_b16_e32 v10, 4, v5
	v_lshrrev_b16_e32 v11, 3, v5
	v_lshrrev_b16_e32 v12, 2, v5
	v_lshrrev_b16_e32 v13, 1, v5
	v_and_b32_e32 v14, 1, v5
	global_load_ubyte v5, v6, s[22:23]
	v_and_b32_e32 v7, 1, v7
	v_and_b32_e32 v8, 1, v8
	v_add_u16_e32 v7, v14, v7
	v_and_b32_e32 v9, 1, v9
	v_add_u16_e32 v7, v7, v8
	;; [unrolled: 2-line block ×6, first 2 shown]
	v_add_u16_e32 v11, v7, v13
	s_add_i32 s6, s6, -1
	s_cmp_lg_u32 s6, 0
	s_waitcnt vmcnt(0)
	v_lshrrev_b16_e32 v7, 7, v5
	v_lshrrev_b16_e32 v8, 6, v5
	v_and_b32_e32 v16, 1, v5
	v_lshrrev_b16_e32 v9, 5, v5
	v_and_b32_e32 v8, 1, v8
	v_add_u16_e32 v7, v16, v7
	v_lshrrev_b16_e32 v10, 4, v5
	v_and_b32_e32 v9, 1, v9
	v_add_u16_e32 v7, v7, v8
	;; [unrolled: 3-line block ×5, first 2 shown]
	v_and_b32_e32 v14, 1, v14
	v_add_u16_e32 v7, v7, v13
	v_add_u16_e32 v12, v7, v14
	v_mul_lo_u16_e32 v7, v12, v11
	v_and_b32_sdwa v7, s7, v7 dst_sel:DWORD dst_unused:UNUSED_PAD src0_sel:DWORD src1_sel:BYTE_0
	v_cvt_f64_u32_e32 v[7:8], v7
	v_add_f64 v[9:10], v[3:4], 1.0
	v_cmp_eq_u16_sdwa vcc, v11, v12 src0_sel:BYTE_0 src1_sel:BYTE_0
	v_add_f64 v[1:2], v[1:2], v[7:8]
	v_cndmask_b32_e32 v4, v4, v10, vcc
	v_cndmask_b32_e32 v3, v3, v9, vcc
	s_cbranch_scc1 .LBB3_6
.LBB3_7:
	s_load_dwordx2 s[6:7], s[10:11], 0x40
	v_mov_b32_e32 v6, 0x68
	v_mov_b32_e32 v7, 0x64
	;; [unrolled: 1-line block ×4, first 2 shown]
	s_waitcnt lgkmcnt(0)
	v_cmp_eq_f64_e32 vcc, s[6:7], v[3:4]
	v_mov_b32_e32 v9, s9
	s_cmp_eq_u32 s17, 2
	v_cndmask_b32_e32 v6, v6, v7, vcc
	v_cmp_nlt_f64_e32 vcc, s[6:7], v[3:4]
	v_mov_b32_e32 v7, 0x60
	v_mov_b32_e32 v4, s9
	v_cndmask_b32_e32 v3, v7, v6, vcc
	v_add_co_u32_e32 v3, vcc, s8, v3
	v_addc_co_u32_e32 v4, vcc, 0, v4, vcc
	v_mov_b32_e32 v6, 1
	global_atomic_add v[3:4], v6, off
	global_load_dwordx2 v[3:4], v5, s[10:11] offset:104
	v_mov_b32_e32 v5, 0xa4
	v_mov_b32_e32 v7, 0xa0
	s_waitcnt vmcnt(0)
	v_cmp_eq_f64_e32 vcc, v[1:2], v[3:4]
	v_cndmask_b32_e32 v5, v5, v7, vcc
	v_cmp_ngt_f64_e32 vcc, v[1:2], v[3:4]
	v_mov_b32_e32 v3, 0
	v_mov_b32_e32 v4, 0
	v_cndmask_b32_e32 v1, v8, v5, vcc
	v_add_co_u32_e32 v1, vcc, s8, v1
	v_addc_co_u32_e32 v2, vcc, 0, v9, vcc
	global_atomic_add v[1:2], v6, off
	v_mov_b32_e32 v1, 0
	v_mov_b32_e32 v2, 0
	s_cbranch_scc1 .LBB3_10
; %bb.8:
	v_mov_b32_e32 v1, 0
	v_mov_b32_e32 v3, 0
	s_lshl_b32 s6, s18, 1
	s_add_i32 s7, s17, -2
	v_mov_b32_e32 v2, 0
	s_mov_b32 s19, 0xffff
	v_mov_b32_e32 v4, 0
	v_mov_b32_e32 v5, v15
.LBB3_9:                                ; =>This Inner Loop Header: Depth=1
	global_load_ubyte v6, v5, s[22:23]
	v_add_u32_e32 v7, s6, v5
	global_load_ubyte v7, v7, s[22:23]
	s_add_i32 s7, s7, -1
	v_add_u32_e32 v5, s18, v5
	s_cmp_lg_u32 s7, 0
	s_waitcnt vmcnt(1)
	v_lshrrev_b16_e32 v8, 7, v6
	v_lshrrev_b16_e32 v9, 6, v6
	;; [unrolled: 1-line block ×7, first 2 shown]
	v_and_b32_e32 v6, 1, v6
	v_and_b32_e32 v9, 1, v9
	v_add_u16_e32 v6, v6, v8
	s_waitcnt vmcnt(0)
	v_lshrrev_b16_e32 v8, 7, v7
	v_lshrrev_b16_e32 v16, 6, v7
	;; [unrolled: 1-line block ×7, first 2 shown]
	v_and_b32_e32 v7, 1, v7
	v_and_b32_e32 v10, 1, v10
	v_add_u16_e32 v6, v6, v9
	v_and_b32_e32 v9, 1, v16
	v_add_u16_e32 v7, v7, v8
	v_and_b32_e32 v11, 1, v11
	v_and_b32_e32 v16, 1, v17
	v_add_u16_e32 v6, v6, v10
	v_add_u16_e32 v7, v7, v9
	v_and_b32_e32 v12, 1, v12
	v_and_b32_e32 v17, 1, v18
	v_add_u16_e32 v6, v6, v11
	;; [unrolled: 4-line block ×4, first 2 shown]
	v_add_u16_e32 v7, v7, v18
	v_and_b32_e32 v20, 1, v21
	v_add_u16_e32 v10, v6, v14
	v_add_u16_e32 v6, v7, v19
	;; [unrolled: 1-line block ×3, first 2 shown]
	v_mul_lo_u16_e32 v6, v11, v10
	v_and_b32_sdwa v6, s19, v6 dst_sel:DWORD dst_unused:UNUSED_PAD src0_sel:DWORD src1_sel:BYTE_0
	v_cvt_f64_u32_e32 v[6:7], v6
	v_add_f64 v[8:9], v[3:4], 1.0
	v_cmp_eq_u16_sdwa vcc, v10, v11 src0_sel:BYTE_0 src1_sel:BYTE_0
	v_add_f64 v[1:2], v[1:2], v[6:7]
	v_cndmask_b32_e32 v4, v4, v9, vcc
	v_cndmask_b32_e32 v3, v3, v8, vcc
	s_cbranch_scc1 .LBB3_9
.LBB3_10:
	v_mov_b32_e32 v7, 0
	global_load_dwordx2 v[5:6], v7, s[10:11] offset:72
	v_mov_b32_e32 v8, 0x74
	v_mov_b32_e32 v9, 0x70
	;; [unrolled: 1-line block ×5, first 2 shown]
	s_cmp_eq_u32 s17, 8
	s_waitcnt vmcnt(0)
	v_cmp_eq_f64_e32 vcc, v[3:4], v[5:6]
	v_cndmask_b32_e32 v8, v8, v9, vcc
	v_cmp_ngt_f64_e32 vcc, v[3:4], v[5:6]
	v_mov_b32_e32 v5, 0xb0
	v_mov_b32_e32 v6, 0xac
	v_cndmask_b32_e32 v3, v10, v8, vcc
	v_add_co_u32_e32 v3, vcc, s8, v3
	v_addc_co_u32_e32 v4, vcc, 0, v11, vcc
	global_atomic_add v[3:4], v12, off
	global_load_dwordx2 v[3:4], v7, s[10:11] offset:112
	v_mov_b32_e32 v7, 0xa8
	v_mov_b32_e32 v8, s9
	s_waitcnt vmcnt(0)
	v_cmp_eq_f64_e32 vcc, v[1:2], v[3:4]
	v_cndmask_b32_e32 v5, v5, v6, vcc
	v_cmp_ngt_f64_e32 vcc, v[1:2], v[3:4]
	v_mov_b32_e32 v3, 0
	v_mov_b32_e32 v4, 0
	v_cndmask_b32_e32 v1, v7, v5, vcc
	v_add_co_u32_e32 v1, vcc, s8, v1
	v_addc_co_u32_e32 v2, vcc, 0, v8, vcc
	global_atomic_add v[1:2], v12, off
	v_mov_b32_e32 v1, 0
	v_mov_b32_e32 v2, 0
	s_cbranch_scc1 .LBB3_13
; %bb.11:
	v_mov_b32_e32 v1, 0
	v_mov_b32_e32 v3, 0
	s_lshl_b32 s6, s18, 3
	s_add_i32 s7, s17, -8
	v_mov_b32_e32 v2, 0
	s_mov_b32 s19, 0xffff
	v_mov_b32_e32 v4, 0
	v_mov_b32_e32 v5, v15
.LBB3_12:                               ; =>This Inner Loop Header: Depth=1
	global_load_ubyte v6, v5, s[22:23]
	v_add_u32_e32 v7, s6, v5
	global_load_ubyte v7, v7, s[22:23]
	s_add_i32 s7, s7, -1
	v_add_u32_e32 v5, s18, v5
	s_cmp_lg_u32 s7, 0
	s_waitcnt vmcnt(1)
	v_lshrrev_b16_e32 v8, 7, v6
	v_lshrrev_b16_e32 v9, 6, v6
	;; [unrolled: 1-line block ×7, first 2 shown]
	v_and_b32_e32 v6, 1, v6
	v_and_b32_e32 v9, 1, v9
	v_add_u16_e32 v6, v6, v8
	s_waitcnt vmcnt(0)
	v_lshrrev_b16_e32 v8, 7, v7
	v_lshrrev_b16_e32 v16, 6, v7
	v_lshrrev_b16_e32 v17, 5, v7
	v_lshrrev_b16_e32 v18, 4, v7
	v_lshrrev_b16_e32 v19, 3, v7
	v_lshrrev_b16_e32 v20, 2, v7
	v_lshrrev_b16_e32 v21, 1, v7
	v_and_b32_e32 v7, 1, v7
	v_and_b32_e32 v10, 1, v10
	v_add_u16_e32 v6, v6, v9
	v_and_b32_e32 v9, 1, v16
	v_add_u16_e32 v7, v7, v8
	v_and_b32_e32 v11, 1, v11
	v_and_b32_e32 v16, 1, v17
	v_add_u16_e32 v6, v6, v10
	v_add_u16_e32 v7, v7, v9
	v_and_b32_e32 v12, 1, v12
	v_and_b32_e32 v17, 1, v18
	v_add_u16_e32 v6, v6, v11
	;; [unrolled: 4-line block ×4, first 2 shown]
	v_add_u16_e32 v7, v7, v18
	v_and_b32_e32 v20, 1, v21
	v_add_u16_e32 v10, v6, v14
	v_add_u16_e32 v6, v7, v19
	;; [unrolled: 1-line block ×3, first 2 shown]
	v_mul_lo_u16_e32 v6, v11, v10
	v_and_b32_sdwa v6, s19, v6 dst_sel:DWORD dst_unused:UNUSED_PAD src0_sel:DWORD src1_sel:BYTE_0
	v_cvt_f64_u32_e32 v[6:7], v6
	v_add_f64 v[8:9], v[3:4], 1.0
	v_cmp_eq_u16_sdwa vcc, v10, v11 src0_sel:BYTE_0 src1_sel:BYTE_0
	v_add_f64 v[1:2], v[1:2], v[6:7]
	v_cndmask_b32_e32 v4, v4, v9, vcc
	v_cndmask_b32_e32 v3, v3, v8, vcc
	s_cbranch_scc1 .LBB3_12
.LBB3_13:
	v_mov_b32_e32 v7, 0
	global_load_dwordx2 v[5:6], v7, s[10:11] offset:80
	v_mov_b32_e32 v8, 0x80
	v_mov_b32_e32 v9, 0x7c
	;; [unrolled: 1-line block ×5, first 2 shown]
	s_cmp_eq_u32 s17, 16
	s_waitcnt vmcnt(0)
	v_cmp_eq_f64_e32 vcc, v[3:4], v[5:6]
	v_cndmask_b32_e32 v8, v8, v9, vcc
	v_cmp_ngt_f64_e32 vcc, v[3:4], v[5:6]
	v_mov_b32_e32 v5, 0xbc
	v_mov_b32_e32 v6, 0xb8
	v_cndmask_b32_e32 v3, v10, v8, vcc
	v_add_co_u32_e32 v3, vcc, s8, v3
	v_addc_co_u32_e32 v4, vcc, 0, v11, vcc
	global_atomic_add v[3:4], v12, off
	global_load_dwordx2 v[3:4], v7, s[10:11] offset:120
	v_mov_b32_e32 v7, 0xb4
	v_mov_b32_e32 v8, s9
	s_waitcnt vmcnt(0)
	v_cmp_eq_f64_e32 vcc, v[1:2], v[3:4]
	v_cndmask_b32_e32 v5, v5, v6, vcc
	v_cmp_ngt_f64_e32 vcc, v[1:2], v[3:4]
	v_mov_b32_e32 v3, 0
	v_mov_b32_e32 v4, 0
	v_cndmask_b32_e32 v1, v7, v5, vcc
	v_add_co_u32_e32 v1, vcc, s8, v1
	v_addc_co_u32_e32 v2, vcc, 0, v8, vcc
	global_atomic_add v[1:2], v12, off
	v_mov_b32_e32 v1, 0
	v_mov_b32_e32 v2, 0
	s_cbranch_scc1 .LBB3_16
; %bb.14:
	v_mov_b32_e32 v1, 0
	v_mov_b32_e32 v3, 0
	s_lshl_b32 s6, s18, 4
	s_add_i32 s7, s17, -16
	v_mov_b32_e32 v2, 0
	s_mov_b32 s19, 0xffff
	v_mov_b32_e32 v4, 0
	v_mov_b32_e32 v5, v15
.LBB3_15:                               ; =>This Inner Loop Header: Depth=1
	global_load_ubyte v6, v5, s[22:23]
	v_add_u32_e32 v7, s6, v5
	global_load_ubyte v7, v7, s[22:23]
	s_add_i32 s7, s7, -1
	v_add_u32_e32 v5, s18, v5
	s_cmp_lg_u32 s7, 0
	s_waitcnt vmcnt(1)
	v_lshrrev_b16_e32 v8, 7, v6
	v_lshrrev_b16_e32 v9, 6, v6
	;; [unrolled: 1-line block ×7, first 2 shown]
	v_and_b32_e32 v6, 1, v6
	v_and_b32_e32 v9, 1, v9
	v_add_u16_e32 v6, v6, v8
	s_waitcnt vmcnt(0)
	v_lshrrev_b16_e32 v8, 7, v7
	v_lshrrev_b16_e32 v16, 6, v7
	;; [unrolled: 1-line block ×7, first 2 shown]
	v_and_b32_e32 v7, 1, v7
	v_and_b32_e32 v10, 1, v10
	v_add_u16_e32 v6, v6, v9
	v_and_b32_e32 v9, 1, v16
	v_add_u16_e32 v7, v7, v8
	v_and_b32_e32 v11, 1, v11
	v_and_b32_e32 v16, 1, v17
	v_add_u16_e32 v6, v6, v10
	v_add_u16_e32 v7, v7, v9
	v_and_b32_e32 v12, 1, v12
	v_and_b32_e32 v17, 1, v18
	v_add_u16_e32 v6, v6, v11
	;; [unrolled: 4-line block ×4, first 2 shown]
	v_add_u16_e32 v7, v7, v18
	v_and_b32_e32 v20, 1, v21
	v_add_u16_e32 v10, v6, v14
	v_add_u16_e32 v6, v7, v19
	;; [unrolled: 1-line block ×3, first 2 shown]
	v_mul_lo_u16_e32 v6, v11, v10
	v_and_b32_sdwa v6, s19, v6 dst_sel:DWORD dst_unused:UNUSED_PAD src0_sel:DWORD src1_sel:BYTE_0
	v_cvt_f64_u32_e32 v[6:7], v6
	v_add_f64 v[8:9], v[3:4], 1.0
	v_cmp_eq_u16_sdwa vcc, v10, v11 src0_sel:BYTE_0 src1_sel:BYTE_0
	v_add_f64 v[1:2], v[1:2], v[6:7]
	v_cndmask_b32_e32 v4, v4, v9, vcc
	v_cndmask_b32_e32 v3, v3, v8, vcc
	s_cbranch_scc1 .LBB3_15
.LBB3_16:
	v_mov_b32_e32 v7, 0
	global_load_dwordx2 v[5:6], v7, s[10:11] offset:88
	v_mov_b32_e32 v8, 0x8c
	v_mov_b32_e32 v9, 0x88
	;; [unrolled: 1-line block ×5, first 2 shown]
	s_cmp_eq_u32 s17, 32
	s_waitcnt vmcnt(0)
	v_cmp_eq_f64_e32 vcc, v[3:4], v[5:6]
	v_cndmask_b32_e32 v8, v8, v9, vcc
	v_cmp_ngt_f64_e32 vcc, v[3:4], v[5:6]
	v_mov_b32_e32 v5, 0xc8
	v_mov_b32_e32 v6, 0xc4
	v_cndmask_b32_e32 v3, v10, v8, vcc
	v_add_co_u32_e32 v3, vcc, s8, v3
	v_addc_co_u32_e32 v4, vcc, 0, v11, vcc
	global_atomic_add v[3:4], v12, off
	global_load_dwordx2 v[3:4], v7, s[10:11] offset:128
	v_mov_b32_e32 v7, 0xc0
	v_mov_b32_e32 v8, s9
	s_waitcnt vmcnt(0)
	v_cmp_eq_f64_e32 vcc, v[1:2], v[3:4]
	v_cndmask_b32_e32 v5, v5, v6, vcc
	v_cmp_ngt_f64_e32 vcc, v[1:2], v[3:4]
	v_mov_b32_e32 v3, 0
	v_mov_b32_e32 v4, 0
	v_cndmask_b32_e32 v1, v7, v5, vcc
	v_add_co_u32_e32 v1, vcc, s8, v1
	v_addc_co_u32_e32 v2, vcc, 0, v8, vcc
	global_atomic_add v[1:2], v12, off
	v_mov_b32_e32 v1, 0
	v_mov_b32_e32 v2, 0
	s_cbranch_scc1 .LBB3_19
; %bb.17:
	v_mov_b32_e32 v3, 0
	v_mov_b32_e32 v1, 0
	s_lshl_b32 s6, s18, 5
	s_sub_i32 s7, s17, 32
	v_mov_b32_e32 v4, 0
	s_mov_b32 s19, 0xffff
	v_mov_b32_e32 v2, 0
	v_mov_b32_e32 v5, v15
.LBB3_18:                               ; =>This Inner Loop Header: Depth=1
	global_load_ubyte v6, v5, s[22:23]
	v_add_u32_e32 v7, s6, v5
	global_load_ubyte v7, v7, s[22:23]
	s_add_i32 s7, s7, -1
	v_add_u32_e32 v5, s18, v5
	s_cmp_lg_u32 s7, 0
	s_waitcnt vmcnt(1)
	v_lshrrev_b16_e32 v8, 7, v6
	v_lshrrev_b16_e32 v9, 6, v6
	;; [unrolled: 1-line block ×7, first 2 shown]
	v_and_b32_e32 v6, 1, v6
	v_and_b32_e32 v9, 1, v9
	v_add_u16_e32 v6, v6, v8
	s_waitcnt vmcnt(0)
	v_lshrrev_b16_e32 v8, 7, v7
	v_lshrrev_b16_e32 v16, 6, v7
	v_lshrrev_b16_e32 v17, 5, v7
	v_lshrrev_b16_e32 v18, 4, v7
	v_lshrrev_b16_e32 v19, 3, v7
	v_lshrrev_b16_e32 v20, 2, v7
	v_lshrrev_b16_e32 v21, 1, v7
	v_and_b32_e32 v7, 1, v7
	v_and_b32_e32 v10, 1, v10
	v_add_u16_e32 v6, v6, v9
	v_and_b32_e32 v9, 1, v16
	v_add_u16_e32 v7, v7, v8
	v_and_b32_e32 v11, 1, v11
	v_and_b32_e32 v16, 1, v17
	v_add_u16_e32 v6, v6, v10
	v_add_u16_e32 v7, v7, v9
	v_and_b32_e32 v12, 1, v12
	v_and_b32_e32 v17, 1, v18
	v_add_u16_e32 v6, v6, v11
	;; [unrolled: 4-line block ×4, first 2 shown]
	v_add_u16_e32 v7, v7, v18
	v_and_b32_e32 v20, 1, v21
	v_add_u16_e32 v10, v6, v14
	v_add_u16_e32 v6, v7, v19
	;; [unrolled: 1-line block ×3, first 2 shown]
	v_mul_lo_u16_e32 v6, v11, v10
	v_and_b32_sdwa v6, s19, v6 dst_sel:DWORD dst_unused:UNUSED_PAD src0_sel:DWORD src1_sel:BYTE_0
	v_cvt_f64_u32_e32 v[6:7], v6
	v_add_f64 v[8:9], v[1:2], 1.0
	v_cmp_eq_u16_sdwa vcc, v10, v11 src0_sel:BYTE_0 src1_sel:BYTE_0
	v_add_f64 v[3:4], v[3:4], v[6:7]
	v_cndmask_b32_e32 v2, v2, v9, vcc
	v_cndmask_b32_e32 v1, v1, v8, vcc
	s_cbranch_scc1 .LBB3_18
.LBB3_19:
	v_mov_b32_e32 v7, 0
	global_load_dwordx2 v[5:6], v7, s[10:11] offset:96
	v_mov_b32_e32 v8, 0x98
	v_mov_b32_e32 v9, 0x94
	v_mov_b32_e32 v10, 0x90
	v_mov_b32_e32 v11, s9
	s_add_u32 s6, s8, 0xcc
	s_addc_u32 s7, s9, 0
	s_waitcnt vmcnt(0)
	v_cmp_eq_f64_e32 vcc, v[1:2], v[5:6]
	v_cndmask_b32_e32 v8, v8, v9, vcc
	v_cmp_ngt_f64_e32 vcc, v[1:2], v[5:6]
	v_mov_b32_e32 v5, 1
	v_cndmask_b32_e32 v1, v10, v8, vcc
	v_add_co_u32_e32 v1, vcc, s8, v1
	v_addc_co_u32_e32 v2, vcc, 0, v11, vcc
	global_atomic_add v[1:2], v5, off
	global_load_dwordx2 v[5:6], v7, s[10:11] offset:136
	v_mov_b32_e32 v1, s6
	v_mov_b32_e32 v2, s7
	s_waitcnt vmcnt(0)
	v_cmp_ngt_f64_e32 vcc, v[3:4], v[5:6]
	s_and_saveexec_b64 s[6:7], vcc
	s_xor_b64 s[6:7], exec, s[6:7]
	s_cbranch_execz .LBB3_23
; %bb.20:
	v_cmp_neq_f64_e32 vcc, v[3:4], v[5:6]
	s_add_u32 s24, s8, 0xd0
	s_addc_u32 s25, s9, 0
	v_mov_b32_e32 v1, s24
	v_mov_b32_e32 v2, s25
	s_and_saveexec_b64 s[24:25], vcc
	s_xor_b64 s[24:25], exec, s[24:25]
; %bb.21:
	s_add_u32 s26, s8, 0xd4
	s_addc_u32 s27, s9, 0
	v_mov_b32_e32 v1, s26
	v_mov_b32_e32 v2, s27
; %bb.22:
	s_andn2_saveexec_b64 s[24:25], s[24:25]
	s_or_b64 exec, exec, s[24:25]
.LBB3_23:
	s_andn2_saveexec_b64 s[6:7], s[6:7]
	s_or_b64 exec, exec, s[6:7]
	s_mov_b64 s[6:7], -1
.LBB3_24:
	s_and_b64 vcc, exec, s[4:5]
	s_cbranch_vccz .LBB3_39
.LBB3_25:
	v_mov_b32_e32 v2, 0
	s_cmp_eq_u32 s17, 0
	s_mov_b32 s5, 0
	buffer_store_dword v2, off, s[0:3], 0 offset:252
	buffer_store_dword v2, off, s[0:3], 0 offset:248
	;; [unrolled: 1-line block ×44, first 2 shown]
	s_cbranch_scc1 .LBB3_41
; %bb.26:
	v_mov_b32_e32 v1, s23
	v_add_co_u32_e32 v5, vcc, s22, v15
	v_mov_b32_e32 v3, 0
	v_mov_b32_e32 v9, 0
	;; [unrolled: 1-line block ×3, first 2 shown]
	s_mov_b32 s4, s17
	v_addc_co_u32_e32 v6, vcc, 0, v1, vcc
	v_mov_b32_e32 v4, 0
	s_mov_b64 s[6:7], 0
	v_mov_b32_e32 v10, 0
	v_mov_b32_e32 v8, 0
	;; [unrolled: 1-line block ×5, first 2 shown]
	s_branch .LBB3_29
.LBB3_27:                               ;   in Loop: Header=BB3_29 Depth=1
	s_or_b64 exec, exec, s[26:27]
.LBB3_28:                               ;   in Loop: Header=BB3_29 Depth=1
	s_or_b64 exec, exec, s[24:25]
	v_add_co_u32_e32 v7, vcc, 1, v7
	v_addc_co_u32_e32 v8, vcc, 0, v8, vcc
	v_add_co_u32_e32 v11, vcc, v9, v7
	v_addc_co_u32_e32 v12, vcc, v10, v8, vcc
	v_cmp_le_u64_e32 vcc, s[4:5], v[11:12]
	s_or_b64 s[6:7], vcc, s[6:7]
	s_andn2_b64 exec, exec, s[6:7]
	s_cbranch_execz .LBB3_40
.LBB3_29:                               ; =>This Loop Header: Depth=1
                                        ;     Child Loop BB3_32 Depth 2
	v_add_co_u32_e32 v11, vcc, v7, v9
	v_addc_co_u32_e32 v12, vcc, v8, v10, vcc
	v_cmp_gt_u64_e32 vcc, s[4:5], v[11:12]
	buffer_store_dword v2, off, s[0:3], 0
	buffer_store_dword v2, off, s[0:3], 0 offset:4
	buffer_store_dword v2, off, s[0:3], 0 offset:8
	;; [unrolled: 1-line block ×63, first 2 shown]
	s_and_saveexec_b64 s[24:25], vcc
	s_cbranch_execz .LBB3_28
; %bb.30:                               ;   in Loop: Header=BB3_29 Depth=1
	v_mad_u64_u32 v[13:14], s[26:27], s18, v11, v[5:6]
	s_mov_b64 s[28:29], 0
                                        ; implicit-def: $sgpr34_sgpr35
                                        ; implicit-def: $sgpr30_sgpr31
	v_mov_b32_e32 v11, v14
	v_mad_u64_u32 v[11:12], s[26:27], s18, v12, v[11:12]
                                        ; implicit-def: $sgpr26_sgpr27
	v_mov_b32_e32 v14, v11
	s_branch .LBB3_32
.LBB3_31:                               ;   in Loop: Header=BB3_32 Depth=2
	s_or_b64 exec, exec, s[36:37]
	s_and_b64 s[36:37], exec, s[34:35]
	s_or_b64 s[28:29], s[36:37], s[28:29]
	s_andn2_b64 s[26:27], s[26:27], exec
	s_and_b64 s[36:37], s[30:31], exec
	s_or_b64 s[26:27], s[26:27], s[36:37]
	s_andn2_b64 exec, exec, s[28:29]
	s_cbranch_execz .LBB3_34
.LBB3_32:                               ;   Parent Loop BB3_29 Depth=1
                                        ; =>  This Inner Loop Header: Depth=2
	global_load_ubyte v11, v[13:14], off
	s_or_b64 s[30:31], s[30:31], exec
	s_or_b64 s[34:35], s[34:35], exec
	s_waitcnt vmcnt(0)
	v_mov_b32_e32 v18, v11
	buffer_load_ubyte v19, v18, s[0:3], 0 offen
	v_mov_b32_e32 v12, v10
	v_mov_b32_e32 v11, v9
	s_waitcnt vmcnt(0)
	v_and_b32_e32 v9, 1, v19
	v_cmp_eq_u32_e32 vcc, 1, v9
	s_xor_b64 s[40:41], vcc, -1
                                        ; implicit-def: $vgpr9_vgpr10
	s_and_saveexec_b64 s[36:37], s[40:41]
	s_cbranch_execz .LBB3_31
; %bb.33:                               ;   in Loop: Header=BB3_32 Depth=2
	v_add_co_u32_e32 v9, vcc, 1, v11
	v_addc_co_u32_e32 v10, vcc, 0, v12, vcc
	buffer_store_byte v16, v18, s[0:3], 0 offen
	v_add_co_u32_e32 v18, vcc, v7, v9
	v_addc_co_u32_e32 v19, vcc, v8, v10, vcc
	v_add_co_u32_e32 v13, vcc, s18, v13
	v_addc_co_u32_e32 v14, vcc, 0, v14, vcc
	v_cmp_le_u64_e32 vcc, s[4:5], v[18:19]
	s_andn2_b64 s[34:35], s[34:35], exec
	s_and_b64 s[40:41], vcc, exec
	s_andn2_b64 s[30:31], s[30:31], exec
	s_or_b64 s[34:35], s[34:35], s[40:41]
	s_branch .LBB3_31
.LBB3_34:                               ;   in Loop: Header=BB3_29 Depth=1
	s_or_b64 exec, exec, s[28:29]
	s_and_saveexec_b64 s[28:29], s[26:27]
	s_xor_b64 s[26:27], exec, s[28:29]
	s_cbranch_execz .LBB3_27
; %bb.35:                               ;   in Loop: Header=BB3_29 Depth=1
	v_cvt_f64_u32_e32 v[9:10], v12
	v_cvt_f64_u32_e32 v[13:14], v11
	v_add_co_u32_e32 v7, vcc, v7, v11
	v_ldexp_f64 v[9:10], v[9:10], 32
	v_addc_co_u32_e32 v8, vcc, v8, v12, vcc
	v_cmp_gt_u64_e32 vcc, v[11:12], v[1:2]
	v_add_u32_e32 v17, 1, v17
	v_cndmask_b32_e32 v1, v1, v11, vcc
	v_add_f64 v[9:10], v[9:10], v[13:14]
	v_add_f64 v[3:4], v[3:4], v[9:10]
	v_mov_b32_e32 v9, 0
	v_mov_b32_e32 v10, 0
	s_branch .LBB3_27
.LBB3_36:
	s_mov_b64 s[6:7], 0
                                        ; implicit-def: $vgpr1_vgpr2
	s_cbranch_execnz .LBB3_66
	s_branch .LBB3_76
.LBB3_37:
	s_mov_b64 s[6:7], 0
                                        ; implicit-def: $vgpr1_vgpr2
	s_cbranch_execnz .LBB3_47
	s_branch .LBB3_65
.LBB3_38:
	s_mov_b64 s[6:7], 0
                                        ; implicit-def: $vgpr1_vgpr2
	s_cbranch_execnz .LBB3_25
.LBB3_39:
	s_branch .LBB3_65
.LBB3_40:
	s_or_b64 exec, exec, s[6:7]
	v_cvt_f64_u32_e32 v[5:6], v17
	v_div_scale_f64 v[7:8], s[4:5], v[5:6], v[5:6], v[3:4]
	v_div_scale_f64 v[13:14], vcc, v[3:4], v[5:6], v[3:4]
	v_rcp_f64_e32 v[9:10], v[7:8]
	v_fma_f64 v[11:12], -v[7:8], v[9:10], 1.0
	v_fma_f64 v[9:10], v[9:10], v[11:12], v[9:10]
	v_fma_f64 v[11:12], -v[7:8], v[9:10], 1.0
	v_fma_f64 v[9:10], v[9:10], v[11:12], v[9:10]
	v_mul_f64 v[11:12], v[13:14], v[9:10]
	v_fma_f64 v[7:8], -v[7:8], v[11:12], v[13:14]
	v_div_fmas_f64 v[7:8], v[7:8], v[9:10], v[11:12]
	v_div_fixup_f64 v[5:6], v[7:8], v[5:6], v[3:4]
	v_cvt_f64_u32_e32 v[3:4], v1
	s_branch .LBB3_42
.LBB3_41:
	v_mov_b32_e32 v3, 0
	v_mov_b32_e32 v5, 0
	;; [unrolled: 1-line block ×4, first 2 shown]
.LBB3_42:
	v_mov_b32_e32 v7, 0
	global_load_dwordx2 v[1:2], v7, s[10:11] offset:48
	v_mov_b32_e32 v8, 0x50
	v_mov_b32_e32 v9, 0x4c
	;; [unrolled: 1-line block ×4, first 2 shown]
	s_add_u32 s4, s8, 0x54
	s_addc_u32 s5, s9, 0
	s_waitcnt vmcnt(0)
	v_cmp_eq_f64_e32 vcc, v[5:6], v[1:2]
	v_cndmask_b32_e32 v8, v8, v9, vcc
	v_cmp_ngt_f64_e32 vcc, v[5:6], v[1:2]
	v_mov_b32_e32 v5, 1
	v_cndmask_b32_e32 v1, v10, v8, vcc
	v_add_co_u32_e32 v1, vcc, s8, v1
	v_addc_co_u32_e32 v2, vcc, 0, v11, vcc
	global_atomic_add v[1:2], v5, off
	global_load_dwordx2 v[5:6], v7, s[10:11] offset:56
	v_mov_b32_e32 v1, s4
	v_mov_b32_e32 v2, s5
	s_waitcnt vmcnt(0)
	v_cmp_ngt_f64_e32 vcc, v[3:4], v[5:6]
	s_and_saveexec_b64 s[4:5], vcc
	s_xor_b64 s[4:5], exec, s[4:5]
	s_cbranch_execz .LBB3_46
; %bb.43:
	v_cmp_neq_f64_e32 vcc, v[3:4], v[5:6]
	s_add_u32 s6, s8, 0x58
	s_addc_u32 s7, s9, 0
	v_mov_b32_e32 v1, s6
	v_mov_b32_e32 v2, s7
	s_and_saveexec_b64 s[6:7], vcc
	s_xor_b64 s[6:7], exec, s[6:7]
; %bb.44:
	s_add_u32 s24, s8, 0x5c
	s_addc_u32 s25, s9, 0
	v_mov_b32_e32 v1, s24
	v_mov_b32_e32 v2, s25
; %bb.45:
	s_andn2_saveexec_b64 s[6:7], s[6:7]
	s_or_b64 exec, exec, s[6:7]
.LBB3_46:
	s_andn2_saveexec_b64 s[4:5], s[4:5]
	s_or_b64 exec, exec, s[4:5]
	s_mov_b64 s[6:7], -1
	s_branch .LBB3_65
.LBB3_47:
	s_cmp_eq_u32 s38, 1
                                        ; implicit-def: $vgpr1_vgpr2
	s_cbranch_scc0 .LBB3_65
; %bb.48:
	s_cmp_gt_u32 s16, 1
	s_cbranch_scc1 .LBB3_51
; %bb.49:
	v_mov_b32_e32 v6, 0
	s_cbranch_execz .LBB3_52
; %bb.50:
	v_mov_b32_e32 v2, 0
	v_mov_b32_e32 v0, 0
	;; [unrolled: 1-line block ×4, first 2 shown]
	s_branch .LBB3_55
.LBB3_51:
                                        ; implicit-def: $vgpr6
.LBB3_52:
	global_load_ubyte v1, v15, s[20:21]
	v_mov_b32_e32 v6, 0
	s_add_i32 s33, s33, s18
	s_add_i32 s6, s16, -1
	v_add_u32_e32 v0, s33, v0
	v_mov_b32_e32 v3, 1
	s_waitcnt vmcnt(0)
	v_cvt_f64_u32_e32 v[1:2], v1
	v_cmp_le_f64_e64 s[4:5], s[14:15], v[1:2]
	v_mov_b32_e32 v1, v6
	v_mov_b32_e32 v2, 1
.LBB3_53:                               ; =>This Inner Loop Header: Depth=1
	global_load_ubyte v4, v0, s[20:21]
	v_add_u32_e32 v7, 1, v3
	s_add_i32 s6, s6, -1
	v_add_u32_e32 v0, s18, v0
	s_waitcnt vmcnt(0)
	v_cvt_f64_u32_e32 v[4:5], v4
	v_cmp_le_f64_e64 s[24:25], s[14:15], v[4:5]
	v_max_u32_e32 v4, v3, v1
	s_xor_b64 vcc, s[4:5], s[24:25]
	v_cndmask_b32_e64 v3, 0, 1, vcc
	s_mov_b64 s[4:5], s[24:25]
	v_add_u32_e32 v2, v2, v3
	v_cndmask_b32_e64 v3, v7, 1, vcc
	s_cmp_lg_u32 s6, 0
	v_cndmask_b32_e32 v1, v1, v4, vcc
	s_cbranch_scc1 .LBB3_53
; %bb.54:
	v_cvt_f64_u32_e32 v[2:3], v2
	v_cvt_f64_u32_e32 v[0:1], v1
.LBB3_55:
	v_mov_b32_e32 v4, 0
	global_load_dwordx2 v[7:8], v4, s[10:11] offset:32
	v_mov_b32_e32 v9, s9
	v_mov_b32_e32 v5, 1
	s_add_i32 s4, s17, -1
	s_cmp_lt_u32 s4, 2
	s_waitcnt vmcnt(0)
	v_cmp_eq_f64_e32 vcc, v[2:3], v[7:8]
	v_cndmask_b32_e64 v10, 56, 52, vcc
	v_cmp_ngt_f64_e32 vcc, v[2:3], v[7:8]
	v_mov_b32_e32 v8, s23
	v_cndmask_b32_e32 v2, 48, v10, vcc
	v_add_co_u32_e32 v2, vcc, s8, v2
	v_addc_co_u32_e32 v3, vcc, 0, v9, vcc
	global_atomic_add v[2:3], v5, off
	global_load_dwordx2 v[2:3], v4, s[10:11] offset:40
	v_add_co_u32_e32 v7, vcc, s22, v15
	v_addc_co_u32_e32 v8, vcc, v8, v6, vcc
	v_mov_b32_e32 v9, 0x44
	v_mov_b32_e32 v10, s9
	s_waitcnt vmcnt(0)
	v_cmp_eq_f64_e32 vcc, v[0:1], v[2:3]
	v_cndmask_b32_e64 v6, v9, 64, vcc
	v_cmp_ngt_f64_e32 vcc, v[0:1], v[2:3]
	v_cndmask_b32_e32 v0, 60, v6, vcc
	v_add_co_u32_e32 v0, vcc, s8, v0
	v_addc_co_u32_e32 v1, vcc, 0, v10, vcc
	global_atomic_add v[0:1], v5, off
	v_add_u32_e32 v1, s18, v15
	global_load_ubyte v0, v[7:8], off
	s_nop 0
	global_load_ubyte v1, v1, s[22:23]
	s_waitcnt vmcnt(1)
	v_lshrrev_b16_e32 v2, 7, v0
	v_lshrrev_b16_e32 v3, 6, v0
	;; [unrolled: 1-line block ×7, first 2 shown]
	v_and_b32_e32 v0, 1, v0
	s_waitcnt vmcnt(0)
	v_lshrrev_b16_e32 v11, 7, v1
	v_lshrrev_b16_e32 v12, 6, v1
	;; [unrolled: 1-line block ×7, first 2 shown]
	v_and_b32_e32 v1, 1, v1
	v_and_b32_e32 v3, 1, v3
	v_add_u16_e32 v0, v0, v2
	v_and_b32_e32 v2, 1, v12
	v_add_u16_e32 v1, v1, v11
	v_and_b32_e32 v6, 1, v6
	v_and_b32_e32 v12, 1, v13
	v_add_u16_e32 v0, v0, v3
	v_add_u16_e32 v1, v1, v2
	v_and_b32_e32 v7, 1, v7
	v_and_b32_e32 v13, 1, v14
	v_add_u16_e32 v0, v0, v6
	;; [unrolled: 4-line block ×5, first 2 shown]
	v_add_u16_e32 v1, v1, v16
	v_add_u16_e32 v0, v0, v10
	;; [unrolled: 1-line block ×3, first 2 shown]
	v_cmp_le_u16_sdwa s[4:5], v0, v1 src0_sel:BYTE_0 src1_sel:BYTE_0
	s_cbranch_scc1 .LBB3_59
; %bb.56:
	s_add_i32 s14, s17, -2
	s_lshl_b32 s15, s18, 1
	v_mov_b32_e32 v1, v15
	v_mov_b32_e32 v0, 1
	;; [unrolled: 1-line block ×3, first 2 shown]
                                        ; implicit-def: $sgpr6_sgpr7
.LBB3_57:                               ; =>This Inner Loop Header: Depth=1
	v_add_u32_e32 v2, s18, v1
	v_add_u32_e32 v1, s15, v1
	global_load_ubyte v3, v2, s[22:23]
	global_load_ubyte v7, v1, s[22:23]
	v_cndmask_b32_e64 v1, 0, 1, s[4:5]
	v_add_u32_e32 v8, 1, v5
	v_max_u32_e32 v9, v5, v4
	v_add_u32_e32 v6, v6, v1
	v_mov_b32_e32 v1, v2
	s_andn2_b64 s[6:7], s[6:7], exec
	s_add_i32 s14, s14, -1
	s_waitcnt vmcnt(1)
	v_lshrrev_b16_e32 v2, 7, v3
	v_lshrrev_b16_e32 v5, 6, v3
	;; [unrolled: 1-line block ×7, first 2 shown]
	v_and_b32_e32 v3, 1, v3
	s_waitcnt vmcnt(0)
	v_lshrrev_b16_e32 v16, 7, v7
	v_lshrrev_b16_e32 v17, 6, v7
	v_add_u16_e32 v2, v3, v2
	v_and_b32_e32 v3, 1, v7
	v_lshrrev_b16_e32 v18, 5, v7
	v_add_u16_e32 v3, v3, v16
	v_and_b32_e32 v5, 1, v5
	v_and_b32_e32 v17, 1, v17
	v_lshrrev_b16_e32 v19, 4, v7
	v_and_b32_e32 v10, 1, v10
	v_and_b32_e32 v18, 1, v18
	v_add_u16_e32 v2, v2, v5
	v_add_u16_e32 v3, v3, v17
	v_lshrrev_b16_e32 v20, 3, v7
	v_and_b32_e32 v11, 1, v11
	v_and_b32_e32 v19, 1, v19
	v_add_u16_e32 v2, v2, v10
	v_add_u16_e32 v3, v3, v18
	;; [unrolled: 5-line block ×4, first 2 shown]
	v_and_b32_e32 v14, 1, v14
	v_and_b32_e32 v7, 1, v7
	v_add_u16_e32 v2, v2, v13
	v_add_u16_e32 v3, v3, v16
	;; [unrolled: 1-line block ×4, first 2 shown]
	v_cmp_le_u16_sdwa s[24:25], v2, v3 src0_sel:BYTE_0 src1_sel:BYTE_0
	s_xor_b64 vcc, s[4:5], s[24:25]
	s_and_b64 s[26:27], s[24:25], exec
	v_cndmask_b32_e64 v2, 0, 1, vcc
	s_or_b64 s[6:7], s[6:7], s[26:27]
	s_mov_b64 s[4:5], s[24:25]
	v_add_u32_e32 v0, v0, v2
	v_cndmask_b32_e64 v5, v8, 1, vcc
	s_cmp_lg_u32 s14, 0
	v_cndmask_b32_e32 v4, v4, v9, vcc
	s_cbranch_scc1 .LBB3_57
; %bb.58:
	v_cvt_f64_u32_e32 v[2:3], v0
	v_cvt_f64_u32_e32 v[0:1], v4
	s_mov_b64 s[4:5], s[6:7]
	s_branch .LBB3_60
.LBB3_59:
	v_mov_b32_e32 v2, 0
	v_mov_b32_e32 v0, 0
	;; [unrolled: 1-line block ×5, first 2 shown]
.LBB3_60:
	v_mov_b32_e32 v7, 0
	global_load_dwordx2 v[4:5], v7, s[10:11] offset:8
	v_mov_b32_e32 v8, s9
	v_mov_b32_e32 v9, 1
	s_waitcnt vmcnt(0)
	v_cmp_eq_f64_e32 vcc, v[2:3], v[4:5]
	v_cndmask_b32_e64 v10, 20, 16, vcc
	v_cmp_ngt_f64_e32 vcc, v[2:3], v[4:5]
	v_mov_b32_e32 v4, s9
	v_cndmask_b32_e32 v2, 12, v10, vcc
	v_add_co_u32_e32 v2, vcc, s8, v2
	v_addc_co_u32_e32 v3, vcc, 0, v8, vcc
	global_atomic_add v[2:3], v9, off
	global_load_dwordx2 v[2:3], v7, s[10:11] offset:16
	s_waitcnt vmcnt(0)
	v_cmp_eq_f64_e32 vcc, v[0:1], v[2:3]
	v_cndmask_b32_e64 v5, 32, 28, vcc
	v_cmp_ngt_f64_e32 vcc, v[0:1], v[2:3]
	v_cndmask_b32_e32 v0, 24, v5, vcc
	v_add_co_u32_e32 v0, vcc, s8, v0
	v_addc_co_u32_e32 v1, vcc, 0, v4, vcc
	global_atomic_add v[0:1], v9, off
	global_load_dwordx2 v[3:4], v7, s[10:11] offset:24
	v_cndmask_b32_e64 v0, 0, 1, s[4:5]
	v_add_u32_e32 v0, v6, v0
	v_sub_u32_e32 v1, s17, v0
	v_max_u32_e32 v0, v0, v1
	v_cvt_f64_u32_e32 v[5:6], v0
	s_add_u32 s4, s8, 36
	s_addc_u32 s5, s9, 0
	v_mov_b32_e32 v1, s4
	v_mov_b32_e32 v2, s5
	s_waitcnt vmcnt(0)
	v_cmp_nlt_f64_e32 vcc, v[3:4], v[5:6]
	s_and_saveexec_b64 s[4:5], vcc
	s_xor_b64 s[4:5], exec, s[4:5]
	s_cbranch_execz .LBB3_64
; %bb.61:
	v_cmp_neq_f64_e32 vcc, v[3:4], v[5:6]
	s_add_u32 s6, s8, 40
	s_addc_u32 s7, s9, 0
	v_mov_b32_e32 v1, s6
	v_mov_b32_e32 v2, s7
	s_and_saveexec_b64 s[6:7], vcc
	s_xor_b64 s[6:7], exec, s[6:7]
; %bb.62:
	s_add_u32 s14, s8, 44
	s_addc_u32 s15, s9, 0
	v_mov_b32_e32 v1, s14
	v_mov_b32_e32 v2, s15
; %bb.63:
	s_andn2_saveexec_b64 s[6:7], s[6:7]
	s_or_b64 exec, exec, s[6:7]
.LBB3_64:
	s_andn2_saveexec_b64 s[4:5], s[4:5]
	s_or_b64 exec, exec, s[4:5]
	s_mov_b64 s[6:7], -1
.LBB3_65:
	s_branch .LBB3_76
.LBB3_66:
	s_cmp_eq_u32 s16, 0
	s_mov_b32 s17, 0
	s_cbranch_scc1 .LBB3_70
; %bb.67:
	v_mov_b32_e32 v1, s21
	v_add_co_u32_e32 v0, vcc, s20, v15
	v_mov_b32_e32 v2, 0
	v_mov_b32_e32 v4, 0
	v_addc_co_u32_e32 v1, vcc, 0, v1, vcc
	v_mov_b32_e32 v3, 0
	v_mov_b32_e32 v5, 0
	s_mov_b64 s[6:7], 0
.LBB3_68:                               ; =>This Inner Loop Header: Depth=1
	global_load_ubyte v10, v[0:1], off
	s_add_u32 s6, s6, 1
	s_addc_u32 s7, s7, 0
	v_cvt_f64_u32_e32 v[6:7], s7
	v_cvt_f64_u32_e32 v[8:9], s6
	v_add_co_u32_e64 v0, s[4:5], s18, v0
	v_ldexp_f64 v[6:7], v[6:7], 32
	v_addc_co_u32_e64 v1, s[4:5], 0, v1, s[4:5]
	s_cmp_lg_u64 s[16:17], s[6:7]
	v_add_f64 v[6:7], v[6:7], v[8:9]
	s_waitcnt vmcnt(0)
	v_cvt_f64_u32_e32 v[10:11], v10
	v_add_f64 v[2:3], v[2:3], v[10:11]
	v_fma_f64 v[6:7], -s[12:13], v[6:7], v[2:3]
	v_cmp_lt_f64_e64 vcc, v[4:5], |v[6:7]|
	v_and_b32_e32 v8, 0x7fffffff, v7
	v_cndmask_b32_e32 v5, v5, v8, vcc
	v_cndmask_b32_e32 v4, v4, v6, vcc
	s_cbranch_scc1 .LBB3_68
; %bb.69:
	v_cvt_f32_f64_e32 v0, v[4:5]
	s_branch .LBB3_71
.LBB3_70:
	v_mov_b32_e32 v0, 0
.LBB3_71:
	v_mov_b32_e32 v1, 0
	global_load_dwordx2 v[1:2], v1, s[10:11]
	s_waitcnt vmcnt(0)
	v_cvt_f32_f64_e32 v3, v[1:2]
	v_mov_b32_e32 v1, s8
	v_mov_b32_e32 v2, s9
	v_cmp_ngt_f32_e32 vcc, v0, v3
	s_and_saveexec_b64 s[4:5], vcc
	s_cbranch_execz .LBB3_75
; %bb.72:
	s_add_u32 s6, s8, 4
	s_addc_u32 s7, s9, 0
	v_mov_b32_e32 v1, s6
	v_cmp_neq_f32_e32 vcc, v0, v3
	v_mov_b32_e32 v2, s7
	s_and_saveexec_b64 s[6:7], vcc
	s_xor_b64 s[6:7], exec, s[6:7]
; %bb.73:
	s_add_u32 s8, s8, 8
	s_addc_u32 s9, s9, 0
	v_mov_b32_e32 v1, s8
	v_mov_b32_e32 v2, s9
; %bb.74:
	s_andn2_saveexec_b64 s[6:7], s[6:7]
	s_or_b64 exec, exec, s[6:7]
.LBB3_75:
	s_or_b64 exec, exec, s[4:5]
	s_mov_b64 s[6:7], -1
.LBB3_76:
	s_and_b64 vcc, exec, s[6:7]
	s_cbranch_vccnz .LBB3_78
; %bb.77:
	s_endpgm
.LBB3_78:
	v_mov_b32_e32 v0, 1
	global_atomic_add v[1:2], v0, off
	s_endpgm
	.section	.rodata,"a",@progbits
	.p2align	6, 0x0
	.amdhsa_kernel _Z31binary_statistical_tests_kernelPjPKdddPKhS3_jjjjj
		.amdhsa_group_segment_fixed_size 0
		.amdhsa_private_segment_fixed_size 272
		.amdhsa_kernarg_size 328
		.amdhsa_user_sgpr_count 6
		.amdhsa_user_sgpr_private_segment_buffer 1
		.amdhsa_user_sgpr_dispatch_ptr 0
		.amdhsa_user_sgpr_queue_ptr 0
		.amdhsa_user_sgpr_kernarg_segment_ptr 1
		.amdhsa_user_sgpr_dispatch_id 0
		.amdhsa_user_sgpr_flat_scratch_init 0
		.amdhsa_user_sgpr_private_segment_size 0
		.amdhsa_uses_dynamic_stack 0
		.amdhsa_system_sgpr_private_segment_wavefront_offset 1
		.amdhsa_system_sgpr_workgroup_id_x 1
		.amdhsa_system_sgpr_workgroup_id_y 0
		.amdhsa_system_sgpr_workgroup_id_z 0
		.amdhsa_system_sgpr_workgroup_info 0
		.amdhsa_system_vgpr_workitem_id 0
		.amdhsa_next_free_vgpr 22
		.amdhsa_next_free_sgpr 42
		.amdhsa_reserve_vcc 1
		.amdhsa_reserve_flat_scratch 0
		.amdhsa_float_round_mode_32 0
		.amdhsa_float_round_mode_16_64 0
		.amdhsa_float_denorm_mode_32 3
		.amdhsa_float_denorm_mode_16_64 3
		.amdhsa_dx10_clamp 1
		.amdhsa_ieee_mode 1
		.amdhsa_fp16_overflow 0
		.amdhsa_exception_fp_ieee_invalid_op 0
		.amdhsa_exception_fp_denorm_src 0
		.amdhsa_exception_fp_ieee_div_zero 0
		.amdhsa_exception_fp_ieee_overflow 0
		.amdhsa_exception_fp_ieee_underflow 0
		.amdhsa_exception_fp_ieee_inexact 0
		.amdhsa_exception_int_div_zero 0
	.end_amdhsa_kernel
	.text
.Lfunc_end3:
	.size	_Z31binary_statistical_tests_kernelPjPKdddPKhS3_jjjjj, .Lfunc_end3-_Z31binary_statistical_tests_kernelPjPKdddPKhS3_jjjjj
                                        ; -- End function
	.set _Z31binary_statistical_tests_kernelPjPKdddPKhS3_jjjjj.num_vgpr, 22
	.set _Z31binary_statistical_tests_kernelPjPKdddPKhS3_jjjjj.num_agpr, 0
	.set _Z31binary_statistical_tests_kernelPjPKdddPKhS3_jjjjj.numbered_sgpr, 42
	.set _Z31binary_statistical_tests_kernelPjPKdddPKhS3_jjjjj.num_named_barrier, 0
	.set _Z31binary_statistical_tests_kernelPjPKdddPKhS3_jjjjj.private_seg_size, 272
	.set _Z31binary_statistical_tests_kernelPjPKdddPKhS3_jjjjj.uses_vcc, 1
	.set _Z31binary_statistical_tests_kernelPjPKdddPKhS3_jjjjj.uses_flat_scratch, 0
	.set _Z31binary_statistical_tests_kernelPjPKdddPKhS3_jjjjj.has_dyn_sized_stack, 0
	.set _Z31binary_statistical_tests_kernelPjPKdddPKhS3_jjjjj.has_recursion, 0
	.set _Z31binary_statistical_tests_kernelPjPKdddPKhS3_jjjjj.has_indirect_call, 0
	.section	.AMDGPU.csdata,"",@progbits
; Kernel info:
; codeLenInByte = 5660
; TotalNumSgprs: 46
; NumVgprs: 22
; ScratchSize: 272
; MemoryBound: 0
; FloatMode: 240
; IeeeMode: 1
; LDSByteSize: 0 bytes/workgroup (compile time only)
; SGPRBlocks: 5
; VGPRBlocks: 5
; NumSGPRsForWavesPerEU: 46
; NumVGPRsForWavesPerEU: 22
; Occupancy: 10
; WaveLimiterHint : 0
; COMPUTE_PGM_RSRC2:SCRATCH_EN: 1
; COMPUTE_PGM_RSRC2:USER_SGPR: 6
; COMPUTE_PGM_RSRC2:TRAP_HANDLER: 0
; COMPUTE_PGM_RSRC2:TGID_X_EN: 1
; COMPUTE_PGM_RSRC2:TGID_Y_EN: 0
; COMPUTE_PGM_RSRC2:TGID_Z_EN: 0
; COMPUTE_PGM_RSRC2:TIDIG_COMP_CNT: 0
	.section	.AMDGPU.gpr_maximums,"",@progbits
	.set amdgpu.max_num_vgpr, 0
	.set amdgpu.max_num_agpr, 0
	.set amdgpu.max_num_sgpr, 0
	.section	.AMDGPU.csdata,"",@progbits
	.type	__hip_cuid_1dd5827a53406bac,@object ; @__hip_cuid_1dd5827a53406bac
	.section	.bss,"aw",@nobits
	.globl	__hip_cuid_1dd5827a53406bac
__hip_cuid_1dd5827a53406bac:
	.byte	0                               ; 0x0
	.size	__hip_cuid_1dd5827a53406bac, 1

	.ident	"AMD clang version 22.0.0git (https://github.com/RadeonOpenCompute/llvm-project roc-7.2.4 26084 f58b06dce1f9c15707c5f808fd002e18c2accf7e)"
	.section	".note.GNU-stack","",@progbits
	.addrsig
	.addrsig_sym __hip_cuid_1dd5827a53406bac
	.amdgpu_metadata
---
amdhsa.kernels:
  - .args:
      - .address_space:  global
        .offset:         0
        .size:           8
        .value_kind:     global_buffer
      - .address_space:  global
        .offset:         8
        .size:           8
        .value_kind:     global_buffer
      - .offset:         16
        .size:           4
        .value_kind:     by_value
      - .offset:         20
        .size:           4
        .value_kind:     by_value
      - .offset:         24
        .size:           4
        .value_kind:     hidden_block_count_x
      - .offset:         28
        .size:           4
        .value_kind:     hidden_block_count_y
      - .offset:         32
        .size:           4
        .value_kind:     hidden_block_count_z
      - .offset:         36
        .size:           2
        .value_kind:     hidden_group_size_x
      - .offset:         38
        .size:           2
        .value_kind:     hidden_group_size_y
      - .offset:         40
        .size:           2
        .value_kind:     hidden_group_size_z
      - .offset:         42
        .size:           2
        .value_kind:     hidden_remainder_x
      - .offset:         44
        .size:           2
        .value_kind:     hidden_remainder_y
      - .offset:         46
        .size:           2
        .value_kind:     hidden_remainder_z
      - .offset:         64
        .size:           8
        .value_kind:     hidden_global_offset_x
      - .offset:         72
        .size:           8
        .value_kind:     hidden_global_offset_y
      - .offset:         80
        .size:           8
        .value_kind:     hidden_global_offset_z
      - .offset:         88
        .size:           2
        .value_kind:     hidden_grid_dims
    .group_segment_fixed_size: 0
    .kernarg_segment_align: 8
    .kernarg_segment_size: 280
    .language:       OpenCL C
    .language_version:
      - 2
      - 0
    .max_flat_workgroup_size: 1024
    .name:           _Z16shuffling_kernelPhPKhjj
    .private_segment_fixed_size: 0
    .sgpr_count:     14
    .sgpr_spill_count: 0
    .symbol:         _Z16shuffling_kernelPhPKhjj.kd
    .uniform_work_group_size: 1
    .uses_dynamic_stack: false
    .vgpr_count:     14
    .vgpr_spill_count: 0
    .wavefront_size: 64
  - .args:
      - .address_space:  global
        .offset:         0
        .size:           8
        .value_kind:     global_buffer
      - .address_space:  global
        .offset:         8
        .size:           8
        .value_kind:     global_buffer
      - .offset:         16
        .size:           8
        .value_kind:     by_value
      - .offset:         24
        .size:           8
        .value_kind:     by_value
      - .address_space:  global
        .offset:         32
        .size:           8
        .value_kind:     global_buffer
      - .offset:         40
        .size:           4
        .value_kind:     by_value
      - .offset:         44
        .size:           4
        .value_kind:     by_value
      - .offset:         48
        .size:           4
        .value_kind:     by_value
      - .offset:         52
        .size:           4
        .value_kind:     by_value
      - .offset:         56
        .size:           4
        .value_kind:     hidden_block_count_x
      - .offset:         60
        .size:           4
        .value_kind:     hidden_block_count_y
      - .offset:         64
        .size:           4
        .value_kind:     hidden_block_count_z
      - .offset:         68
        .size:           2
        .value_kind:     hidden_group_size_x
      - .offset:         70
        .size:           2
        .value_kind:     hidden_group_size_y
      - .offset:         72
        .size:           2
        .value_kind:     hidden_group_size_z
      - .offset:         74
        .size:           2
        .value_kind:     hidden_remainder_x
      - .offset:         76
        .size:           2
        .value_kind:     hidden_remainder_y
      - .offset:         78
        .size:           2
        .value_kind:     hidden_remainder_z
      - .offset:         96
        .size:           8
        .value_kind:     hidden_global_offset_x
      - .offset:         104
        .size:           8
        .value_kind:     hidden_global_offset_y
      - .offset:         112
        .size:           8
        .value_kind:     hidden_global_offset_z
      - .offset:         120
        .size:           2
        .value_kind:     hidden_grid_dims
    .group_segment_fixed_size: 0
    .kernarg_segment_align: 8
    .kernarg_segment_size: 312
    .language:       OpenCL C
    .language_version:
      - 2
      - 0
    .max_flat_workgroup_size: 1024
    .name:           _Z24statistical_tests_kernelPjPKdddPKhjjjj
    .private_segment_fixed_size: 272
    .sgpr_count:     40
    .sgpr_spill_count: 0
    .symbol:         _Z24statistical_tests_kernelPjPKdddPKhjjjj.kd
    .uniform_work_group_size: 1
    .uses_dynamic_stack: false
    .vgpr_count:     21
    .vgpr_spill_count: 0
    .wavefront_size: 64
  - .args:
      - .address_space:  global
        .offset:         0
        .size:           8
        .value_kind:     global_buffer
      - .address_space:  global
        .offset:         8
        .size:           8
        .value_kind:     global_buffer
      - .address_space:  global
        .offset:         16
        .size:           8
        .value_kind:     global_buffer
      - .offset:         24
        .size:           4
        .value_kind:     by_value
      - .offset:         28
        .size:           4
        .value_kind:     by_value
      - .offset:         32
        .size:           4
        .value_kind:     by_value
      - .offset:         40
        .size:           4
        .value_kind:     hidden_block_count_x
      - .offset:         44
        .size:           4
        .value_kind:     hidden_block_count_y
      - .offset:         48
        .size:           4
        .value_kind:     hidden_block_count_z
      - .offset:         52
        .size:           2
        .value_kind:     hidden_group_size_x
      - .offset:         54
        .size:           2
        .value_kind:     hidden_group_size_y
      - .offset:         56
        .size:           2
        .value_kind:     hidden_group_size_z
      - .offset:         58
        .size:           2
        .value_kind:     hidden_remainder_x
      - .offset:         60
        .size:           2
        .value_kind:     hidden_remainder_y
      - .offset:         62
        .size:           2
        .value_kind:     hidden_remainder_z
      - .offset:         80
        .size:           8
        .value_kind:     hidden_global_offset_x
      - .offset:         88
        .size:           8
        .value_kind:     hidden_global_offset_y
      - .offset:         96
        .size:           8
        .value_kind:     hidden_global_offset_z
      - .offset:         104
        .size:           2
        .value_kind:     hidden_grid_dims
    .group_segment_fixed_size: 0
    .kernarg_segment_align: 8
    .kernarg_segment_size: 296
    .language:       OpenCL C
    .language_version:
      - 2
      - 0
    .max_flat_workgroup_size: 1024
    .name:           _Z23binary_shuffling_kernelPhS_PKhjjj
    .private_segment_fixed_size: 0
    .sgpr_count:     18
    .sgpr_spill_count: 0
    .symbol:         _Z23binary_shuffling_kernelPhS_PKhjjj.kd
    .uniform_work_group_size: 1
    .uses_dynamic_stack: false
    .vgpr_count:     21
    .vgpr_spill_count: 0
    .wavefront_size: 64
  - .args:
      - .address_space:  global
        .offset:         0
        .size:           8
        .value_kind:     global_buffer
      - .address_space:  global
        .offset:         8
        .size:           8
        .value_kind:     global_buffer
      - .offset:         16
        .size:           8
        .value_kind:     by_value
      - .offset:         24
        .size:           8
        .value_kind:     by_value
      - .address_space:  global
        .offset:         32
        .size:           8
        .value_kind:     global_buffer
      - .address_space:  global
        .offset:         40
        .size:           8
        .value_kind:     global_buffer
      - .offset:         48
        .size:           4
        .value_kind:     by_value
      - .offset:         52
        .size:           4
        .value_kind:     by_value
      - .offset:         56
        .size:           4
        .value_kind:     by_value
      - .offset:         60
        .size:           4
        .value_kind:     by_value
      - .offset:         64
        .size:           4
        .value_kind:     by_value
      - .offset:         72
        .size:           4
        .value_kind:     hidden_block_count_x
      - .offset:         76
        .size:           4
        .value_kind:     hidden_block_count_y
      - .offset:         80
        .size:           4
        .value_kind:     hidden_block_count_z
      - .offset:         84
        .size:           2
        .value_kind:     hidden_group_size_x
      - .offset:         86
        .size:           2
        .value_kind:     hidden_group_size_y
      - .offset:         88
        .size:           2
        .value_kind:     hidden_group_size_z
      - .offset:         90
        .size:           2
        .value_kind:     hidden_remainder_x
      - .offset:         92
        .size:           2
        .value_kind:     hidden_remainder_y
      - .offset:         94
        .size:           2
        .value_kind:     hidden_remainder_z
      - .offset:         112
        .size:           8
        .value_kind:     hidden_global_offset_x
      - .offset:         120
        .size:           8
        .value_kind:     hidden_global_offset_y
      - .offset:         128
        .size:           8
        .value_kind:     hidden_global_offset_z
      - .offset:         136
        .size:           2
        .value_kind:     hidden_grid_dims
    .group_segment_fixed_size: 0
    .kernarg_segment_align: 8
    .kernarg_segment_size: 328
    .language:       OpenCL C
    .language_version:
      - 2
      - 0
    .max_flat_workgroup_size: 1024
    .name:           _Z31binary_statistical_tests_kernelPjPKdddPKhS3_jjjjj
    .private_segment_fixed_size: 272
    .sgpr_count:     46
    .sgpr_spill_count: 0
    .symbol:         _Z31binary_statistical_tests_kernelPjPKdddPKhS3_jjjjj.kd
    .uniform_work_group_size: 1
    .uses_dynamic_stack: false
    .vgpr_count:     22
    .vgpr_spill_count: 0
    .wavefront_size: 64
amdhsa.target:   amdgcn-amd-amdhsa--gfx906
amdhsa.version:
  - 1
  - 2
...

	.end_amdgpu_metadata
